;; amdgpu-corpus repo=ROCm/rocFFT kind=compiled arch=gfx950 opt=O3
	.text
	.amdgcn_target "amdgcn-amd-amdhsa--gfx950"
	.amdhsa_code_object_version 6
	.protected	bluestein_single_fwd_len143_dim1_sp_op_CI_CI ; -- Begin function bluestein_single_fwd_len143_dim1_sp_op_CI_CI
	.globl	bluestein_single_fwd_len143_dim1_sp_op_CI_CI
	.p2align	8
	.type	bluestein_single_fwd_len143_dim1_sp_op_CI_CI,@function
bluestein_single_fwd_len143_dim1_sp_op_CI_CI: ; @bluestein_single_fwd_len143_dim1_sp_op_CI_CI
; %bb.0:
	s_load_dwordx4 s[8:11], s[0:1], 0x28
	v_mul_u32_u24_e32 v1, 0x13b2, v0
	v_lshrrev_b32_e32 v2, 16, v1
	v_mad_u64_u32 v[44:45], s[2:3], s2, 14, v[2:3]
	v_mov_b32_e32 v45, 0
	s_waitcnt lgkmcnt(0)
	v_cmp_gt_u64_e32 vcc, s[8:9], v[44:45]
	s_and_saveexec_b64 s[2:3], vcc
	s_cbranch_execz .LBB0_15
; %bb.1:
	v_mul_lo_u16_e32 v1, 13, v2
	v_sub_u16_e32 v108, v0, v1
	v_lshrrev_b32_e32 v0, 1, v44
	s_mov_b32 s2, 0x92492493
	v_mul_hi_u32 v0, v0, s2
	s_load_dwordx2 s[8:9], s[0:1], 0x0
	s_load_dwordx2 s[12:13], s[0:1], 0x38
	v_lshrrev_b32_e32 v0, 2, v0
	v_mul_lo_u32 v0, v0, 14
	v_sub_u32_e32 v0, v44, v0
	v_mul_u32_u24_e32 v105, 0x8f, v0
	v_cmp_gt_u16_e32 vcc, 11, v108
	v_lshlrev_b32_e32 v45, 3, v108
	v_lshlrev_b32_e32 v104, 3, v105
	s_and_saveexec_b64 s[2:3], vcc
	s_cbranch_execz .LBB0_3
; %bb.2:
	s_load_dwordx2 s[4:5], s[0:1], 0x18
	v_mov_b32_e32 v0, s10
	v_mov_b32_e32 v1, s11
	;; [unrolled: 1-line block ×3, first 2 shown]
	v_lshl_add_u32 v56, v108, 3, v104
	s_waitcnt lgkmcnt(0)
	s_load_dwordx4 s[4:7], s[4:5], 0x0
	v_add_u32_e32 v57, v104, v45
	s_waitcnt lgkmcnt(0)
	v_mad_u64_u32 v[2:3], s[10:11], s6, v44, 0
	v_mad_u64_u32 v[4:5], s[10:11], s4, v108, 0
	v_mov_b32_e32 v6, v3
	v_mov_b32_e32 v8, v5
	v_mad_u64_u32 v[6:7], s[6:7], s7, v44, v[6:7]
	v_mov_b32_e32 v3, v6
	v_mad_u64_u32 v[6:7], s[6:7], s5, v108, v[8:9]
	v_mov_b32_e32 v5, v6
	v_lshl_add_u64 v[0:1], v[2:3], 3, v[0:1]
	v_lshl_add_u64 v[0:1], v[4:5], 3, v[0:1]
	global_load_dwordx2 v[2:3], v[0:1], off
	v_mad_u64_u32 v[0:1], s[6:7], s4, v52, v[0:1]
	s_mul_i32 s10, s5, 0x58
	v_add_u32_e32 v1, s10, v1
	global_load_dwordx2 v[4:5], v[0:1], off
	v_mad_u64_u32 v[0:1], s[6:7], s4, v52, v[0:1]
	v_add_u32_e32 v1, s10, v1
	v_mad_u64_u32 v[8:9], s[6:7], s4, v52, v[0:1]
	v_add_u32_e32 v9, s10, v9
	global_load_dwordx2 v[6:7], v45, s[8:9]
	global_load_dwordx2 v[10:11], v45, s[8:9] offset:88
	global_load_dwordx2 v[12:13], v45, s[8:9] offset:176
	;; [unrolled: 1-line block ×3, first 2 shown]
	global_load_dwordx2 v[16:17], v[0:1], off
	v_mad_u64_u32 v[0:1], s[6:7], s4, v52, v[8:9]
	v_add_u32_e32 v1, s10, v1
	global_load_dwordx2 v[18:19], v[8:9], off
	global_load_dwordx2 v[20:21], v[0:1], off
	v_mad_u64_u32 v[0:1], s[6:7], s4, v52, v[0:1]
	v_add_u32_e32 v1, s10, v1
	global_load_dwordx2 v[8:9], v[0:1], off
	global_load_dwordx2 v[22:23], v45, s[8:9] offset:352
	v_mad_u64_u32 v[0:1], s[6:7], s4, v52, v[0:1]
	v_add_u32_e32 v1, s10, v1
	global_load_dwordx2 v[24:25], v[0:1], off
	global_load_dwordx2 v[26:27], v45, s[8:9] offset:440
	v_mad_u64_u32 v[0:1], s[6:7], s4, v52, v[0:1]
	v_add_u32_e32 v1, s10, v1
	global_load_dwordx2 v[28:29], v45, s[8:9] offset:528
	global_load_dwordx2 v[30:31], v[0:1], off
	global_load_dwordx2 v[32:33], v45, s[8:9] offset:616
	v_mad_u64_u32 v[0:1], s[6:7], s4, v52, v[0:1]
	v_add_u32_e32 v1, s10, v1
	global_load_dwordx2 v[34:35], v[0:1], off
	v_mad_u64_u32 v[0:1], s[6:7], s4, v52, v[0:1]
	v_add_u32_e32 v1, s10, v1
	global_load_dwordx2 v[38:39], v[0:1], off
	v_mad_u64_u32 v[0:1], s[6:7], s4, v52, v[0:1]
	global_load_dwordx2 v[36:37], v45, s[8:9] offset:704
	global_load_dwordx2 v[40:41], v45, s[8:9] offset:792
	v_add_u32_e32 v1, s10, v1
	global_load_dwordx2 v[42:43], v[0:1], off
	global_load_dwordx2 v[46:47], v45, s[8:9] offset:880
	v_mad_u64_u32 v[0:1], s[6:7], s4, v52, v[0:1]
	v_add_u32_e32 v1, s10, v1
	global_load_dwordx2 v[48:49], v[0:1], off
	global_load_dwordx2 v[50:51], v45, s[8:9] offset:968
	v_mad_u64_u32 v[0:1], s[4:5], s4, v52, v[0:1]
	v_add_u32_e32 v1, s10, v1
	global_load_dwordx2 v[52:53], v45, s[8:9] offset:1056
	global_load_dwordx2 v[54:55], v[0:1], off
	s_waitcnt vmcnt(23)
	v_mul_f32_e32 v1, v2, v7
	v_mul_f32_e32 v0, v3, v7
	v_fma_f32 v1, v3, v6, -v1
	v_fmac_f32_e32 v0, v2, v6
	ds_write_b64 v56, v[0:1]
	s_waitcnt vmcnt(22)
	v_mul_f32_e32 v0, v5, v11
	v_mul_f32_e32 v1, v4, v11
	s_waitcnt vmcnt(19)
	v_mul_f32_e32 v2, v17, v13
	v_mul_f32_e32 v3, v16, v13
	v_fmac_f32_e32 v0, v4, v10
	v_fma_f32 v1, v5, v10, -v1
	v_fmac_f32_e32 v2, v16, v12
	v_fma_f32 v3, v17, v12, -v3
	ds_write2_b64 v57, v[0:1], v[2:3] offset0:11 offset1:22
	s_waitcnt vmcnt(18)
	v_mul_f32_e32 v0, v19, v15
	v_mul_f32_e32 v1, v18, v15
	s_waitcnt vmcnt(15)
	v_mul_f32_e32 v2, v21, v23
	v_mul_f32_e32 v3, v20, v23
	v_fmac_f32_e32 v0, v18, v14
	v_fma_f32 v1, v19, v14, -v1
	v_fmac_f32_e32 v2, v20, v22
	v_fma_f32 v3, v21, v22, -v3
	ds_write2_b64 v57, v[0:1], v[2:3] offset0:33 offset1:44
	;; [unrolled: 11-line block ×6, first 2 shown]
.LBB0_3:
	s_or_b64 exec, exec, s[2:3]
	s_load_dwordx2 s[2:3], s[0:1], 0x20
	s_load_dwordx2 s[4:5], s[0:1], 0x8
	v_mov_b64_e32 v[0:1], 0
	s_waitcnt lgkmcnt(0)
	s_barrier
	s_waitcnt lgkmcnt(0)
                                        ; implicit-def: $vgpr6
                                        ; implicit-def: $vgpr20
                                        ; implicit-def: $vgpr14
                                        ; implicit-def: $vgpr8
                                        ; implicit-def: $vgpr26
                                        ; implicit-def: $vgpr40
	s_and_saveexec_b64 s[0:1], vcc
	s_cbranch_execz .LBB0_5
; %bb.4:
	v_lshl_add_u32 v16, v105, 3, v45
	ds_read2_b64 v[0:3], v16 offset1:11
	ds_read2_b64 v[24:27], v16 offset0:22 offset1:33
	ds_read2_b64 v[12:15], v16 offset0:44 offset1:55
	;; [unrolled: 1-line block ×5, first 2 shown]
	ds_read_b64 v[40:41], v16 offset:1056
.LBB0_5:
	s_or_b64 exec, exec, s[0:1]
	s_waitcnt lgkmcnt(0)
	v_pk_add_f32 v[32:33], v[2:3], v[40:41] neg_lo:[0,1] neg_hi:[0,1]
	s_mov_b32 s0, 0xbeedf032
	v_pk_add_f32 v[30:31], v[40:41], v[2:3]
	v_pk_add_f32 v[58:59], v[24:25], v[10:11] neg_lo:[0,1] neg_hi:[0,1]
	s_mov_b32 s10, 0x3f62ad3f
	v_pk_mul_f32 v[18:19], v[32:33], s[0:1] op_sel_hi:[1,0]
	s_mov_b32 s20, 0xbf52af12
	v_pk_add_f32 v[28:29], v[10:11], v[24:25]
	v_pk_fma_f32 v[54:55], v[30:31], s[10:11], v[18:19] op_sel:[0,0,1] op_sel_hi:[1,0,0]
	v_pk_fma_f32 v[56:57], v[30:31], s[10:11], v[18:19] op_sel:[0,0,1] op_sel_hi:[1,0,0] neg_lo:[0,0,1] neg_hi:[0,0,1]
	s_mov_b32 s6, 0x3f116cb1
	v_pk_mul_f32 v[36:37], v[58:59], s[20:21] op_sel:[1,0] op_sel_hi:[0,0]
	v_mov_b32_e32 v18, v54
	v_mov_b32_e32 v19, v57
	v_pk_fma_f32 v[60:61], v[28:29], s[6:7], v[36:37] op_sel_hi:[1,0,1]
	v_pk_fma_f32 v[62:63], v[28:29], s[6:7], v[36:37] op_sel_hi:[1,0,1] neg_lo:[0,0,1] neg_hi:[0,0,1]
	v_pk_add_f32 v[18:19], v[18:19], v[0:1]
	v_pk_mul_f32 v[34:35], v[32:33], s[20:21] op_sel_hi:[1,0]
	v_mov_b32_e32 v36, v60
	v_mov_b32_e32 v37, v63
	s_mov_b32 s16, 0xbf6f5d39
	v_pk_fma_f32 v[42:43], v[30:31], s[6:7], v[34:35] op_sel:[0,0,1] op_sel_hi:[1,0,0]
	v_pk_fma_f32 v[48:49], v[30:31], s[6:7], v[34:35] op_sel:[0,0,1] op_sel_hi:[1,0,0] neg_lo:[0,0,1] neg_hi:[0,0,1]
	v_pk_add_f32 v[18:19], v[36:37], v[18:19]
	s_mov_b32 s14, 0xbeb58ec6
	v_pk_mul_f32 v[36:37], v[58:59], s[16:17] op_sel:[1,0] op_sel_hi:[0,0]
	v_mov_b32_e32 v34, v42
	v_mov_b32_e32 v35, v49
	v_pk_fma_f32 v[50:51], v[28:29], s[14:15], v[36:37] op_sel_hi:[1,0,1]
	v_pk_fma_f32 v[52:53], v[28:29], s[14:15], v[36:37] op_sel_hi:[1,0,1] neg_lo:[0,0,1] neg_hi:[0,0,1]
	v_pk_add_f32 v[34:35], v[34:35], v[0:1]
	v_mov_b32_e32 v36, v50
	v_mov_b32_e32 v37, v53
	v_pk_add_f32 v[76:77], v[26:27], v[8:9] neg_lo:[0,1] neg_hi:[0,1]
	s_mov_b32 s36, 0xbf7e222b
	v_pk_add_f32 v[16:17], v[8:9], v[26:27]
	v_pk_add_f32 v[34:35], v[36:37], v[34:35]
	s_mov_b32 s18, 0x3df6dbef
	v_pk_mul_f32 v[36:37], v[76:77], s[36:37] op_sel:[1,0] op_sel_hi:[0,0]
	v_pk_fma_f32 v[68:69], v[16:17], s[18:19], v[36:37] op_sel_hi:[1,0,1]
	v_pk_fma_f32 v[74:75], v[16:17], s[18:19], v[36:37] op_sel_hi:[1,0,1] neg_lo:[0,0,1] neg_hi:[0,0,1]
	v_mov_b32_e32 v36, v68
	v_mov_b32_e32 v37, v75
	s_mov_b32 s26, 0xbe750f2a
	v_pk_add_f32 v[18:19], v[36:37], v[18:19]
	s_mov_b32 s22, 0xbf788fa5
	v_pk_mul_f32 v[36:37], v[76:77], s[26:27] op_sel:[1,0] op_sel_hi:[0,0]
	v_pk_fma_f32 v[64:65], v[16:17], s[22:23], v[36:37] op_sel_hi:[1,0,1]
	v_pk_fma_f32 v[66:67], v[16:17], s[22:23], v[36:37] op_sel_hi:[1,0,1] neg_lo:[0,0,1] neg_hi:[0,0,1]
	v_mov_b32_e32 v36, v64
	v_mov_b32_e32 v37, v67
	v_pk_add_f32 v[94:95], v[12:13], v[22:23] neg_lo:[0,1] neg_hi:[0,1]
	v_pk_add_f32 v[36:37], v[36:37], v[34:35]
	v_pk_add_f32 v[34:35], v[22:23], v[12:13]
	v_pk_mul_f32 v[38:39], v[94:95], s[16:17] op_sel:[1,0] op_sel_hi:[0,0]
	v_pk_fma_f32 v[78:79], v[34:35], s[14:15], v[38:39] op_sel_hi:[1,0,1]
	v_pk_fma_f32 v[84:85], v[34:35], s[14:15], v[38:39] op_sel_hi:[1,0,1] neg_lo:[0,0,1] neg_hi:[0,0,1]
	v_mov_b32_e32 v38, v78
	v_mov_b32_e32 v39, v85
	s_mov_b32 s38, 0x3f29c268
	v_pk_add_f32 v[18:19], v[38:39], v[18:19]
	s_mov_b32 s24, 0xbf3f9e67
	v_pk_mul_f32 v[38:39], v[94:95], s[38:39] op_sel:[1,0] op_sel_hi:[0,0]
	v_pk_fma_f32 v[70:71], v[34:35], s[24:25], v[38:39] op_sel_hi:[1,0,1]
	v_pk_fma_f32 v[72:73], v[34:35], s[24:25], v[38:39] op_sel_hi:[1,0,1] neg_lo:[0,0,1] neg_hi:[0,0,1]
	v_mov_b32_e32 v38, v70
	v_mov_b32_e32 v39, v73
	s_mov_b32 s30, 0xbf29c268
	v_pk_add_f32 v[100:101], v[14:15], v[20:21] neg_lo:[0,1] neg_hi:[0,1]
	v_pk_add_f32 v[38:39], v[38:39], v[36:37]
	v_pk_add_f32 v[36:37], v[20:21], v[14:15]
	v_pk_mul_f32 v[46:47], v[100:101], s[30:31] op_sel:[1,0] op_sel_hi:[0,0]
	v_pk_fma_f32 v[90:91], v[36:37], s[24:25], v[46:47] op_sel_hi:[1,0,1]
	v_pk_fma_f32 v[92:93], v[36:37], s[24:25], v[46:47] op_sel_hi:[1,0,1] neg_lo:[0,0,1] neg_hi:[0,0,1]
	v_mov_b32_e32 v46, v90
	v_mov_b32_e32 v47, v93
	s_mov_b32 s28, 0x3f7e222b
	v_pk_add_f32 v[18:19], v[46:47], v[18:19]
	v_pk_mul_f32 v[46:47], v[100:101], s[28:29] op_sel:[1,0] op_sel_hi:[0,0]
	v_pk_fma_f32 v[80:81], v[36:37], s[18:19], v[46:47] op_sel_hi:[1,0,1]
	v_pk_fma_f32 v[82:83], v[36:37], s[18:19], v[46:47] op_sel_hi:[1,0,1] neg_lo:[0,0,1] neg_hi:[0,0,1]
	v_mov_b32_e32 v46, v80
	v_mov_b32_e32 v47, v83
	v_pk_add_f32 v[102:103], v[4:5], v[6:7] neg_lo:[0,1] neg_hi:[0,1]
	v_pk_add_f32 v[106:107], v[46:47], v[38:39]
	v_pk_add_f32 v[38:39], v[6:7], v[4:5]
	v_pk_mul_f32 v[46:47], v[102:103], s[26:27] op_sel:[1,0] op_sel_hi:[0,0]
	v_pk_fma_f32 v[96:97], v[38:39], s[22:23], v[46:47] op_sel_hi:[1,0,1]
	v_pk_fma_f32 v[98:99], v[38:39], s[22:23], v[46:47] op_sel_hi:[1,0,1] neg_lo:[0,0,1] neg_hi:[0,0,1]
	v_mov_b32_e32 v46, v96
	v_mov_b32_e32 v47, v99
	s_mov_b32 s34, 0x3eedf032
	v_pk_add_f32 v[46:47], v[46:47], v[18:19]
	v_pk_mul_f32 v[18:19], v[102:103], s[34:35] op_sel:[1,0] op_sel_hi:[0,0]
	v_pk_fma_f32 v[86:87], v[38:39], s[10:11], v[18:19] op_sel_hi:[1,0,1]
	v_pk_fma_f32 v[88:89], v[38:39], s[10:11], v[18:19] op_sel_hi:[1,0,1] neg_lo:[0,0,1] neg_hi:[0,0,1]
	v_mov_b32_e32 v18, v86
	v_mov_b32_e32 v19, v89
	v_pk_add_f32 v[18:19], v[18:19], v[106:107]
	v_mul_lo_u16_e32 v68, 13, v108
	s_barrier
	s_and_saveexec_b64 s[0:1], vcc
	s_cbranch_execz .LBB0_7
; %bb.6:
	v_pk_add_f32 v[2:3], v[2:3], v[0:1]
	v_mov_b32_e32 v57, v55
	v_pk_add_f32 v[2:3], v[24:25], v[2:3]
	v_mov_b32_e32 v63, v61
	;; [unrolled: 2-line block ×6, first 2 shown]
	v_pk_add_f32 v[2:3], v[6:7], v[2:3]
	v_add_lshl_u32 v109, v105, v68, 3
	v_pk_add_f32 v[2:3], v[20:21], v[2:3]
	v_mov_b32_e32 v4, v59
	v_pk_add_f32 v[2:3], v[22:23], v[2:3]
	v_mov_b32_e32 v5, v58
	v_pk_add_f32 v[2:3], v[8:9], v[2:3]
	v_pk_add_f32 v[8:9], v[56:57], v[0:1]
	;; [unrolled: 1-line block ×6, first 2 shown]
	v_pk_mul_f32 v[24:25], v[4:5], s[26:27] op_sel_hi:[1,0]
	v_pk_add_f32 v[8:9], v[84:85], v[8:9]
	v_pk_fma_f32 v[26:27], v[28:29], s[22:23], v[24:25] op_sel_hi:[1,0,1] neg_lo:[0,0,1] neg_hi:[0,0,1]
	v_pk_add_f32 v[8:9], v[92:93], v[8:9]
	v_pk_fma_f32 v[24:25], v[28:29], s[22:23], v[24:25] op_sel_hi:[1,0,1]
	v_pk_add_f32 v[8:9], v[98:99], v[8:9]
	ds_write2_b64 v109, v[2:3], v[8:9] offset1:1
	v_pk_mul_f32 v[8:9], v[32:33], s[36:37] op_sel_hi:[1,0]
	v_mov_b32_e32 v6, v77
	v_pk_fma_f32 v[10:11], v[30:31], s[18:19], v[8:9] op_sel:[0,0,1] op_sel_hi:[1,0,0] neg_lo:[0,0,1] neg_hi:[0,0,1]
	v_pk_fma_f32 v[8:9], v[30:31], s[18:19], v[8:9] op_sel:[0,0,1] op_sel_hi:[1,0,0]
	v_mov_b32_e32 v22, v10
	v_mov_b32_e32 v23, v9
	;; [unrolled: 1-line block ×3, first 2 shown]
	v_pk_add_f32 v[22:23], v[22:23], v[0:1]
	v_mov_b32_e32 v40, v26
	v_mov_b32_e32 v41, v25
	s_mov_b32 s40, 0x3f6f5d39
	v_pk_add_f32 v[22:23], v[40:41], v[22:23]
	v_pk_mul_f32 v[40:41], v[6:7], s[40:41] op_sel_hi:[1,0]
	v_mov_b32_e32 v49, v43
	v_pk_fma_f32 v[42:43], v[16:17], s[14:15], v[40:41] op_sel_hi:[1,0,1] neg_lo:[0,0,1] neg_hi:[0,0,1]
	v_pk_fma_f32 v[40:41], v[16:17], s[14:15], v[40:41] op_sel_hi:[1,0,1]
	v_mov_b32_e32 v12, v95
	v_mov_b32_e32 v13, v94
	v_pk_add_f32 v[2:3], v[48:49], v[0:1]
	v_mov_b32_e32 v48, v42
	v_mov_b32_e32 v49, v41
	v_pk_add_f32 v[22:23], v[48:49], v[22:23]
	v_pk_mul_f32 v[48:49], v[12:13], s[34:35] op_sel_hi:[1,0]
	v_mov_b32_e32 v53, v51
	v_pk_fma_f32 v[50:51], v[34:35], s[10:11], v[48:49] op_sel_hi:[1,0,1] neg_lo:[0,0,1] neg_hi:[0,0,1]
	v_pk_fma_f32 v[48:49], v[34:35], s[10:11], v[48:49] op_sel_hi:[1,0,1]
	v_mov_b32_e32 v14, v101
	v_mov_b32_e32 v15, v100
	v_pk_add_f32 v[2:3], v[52:53], v[2:3]
	v_mov_b32_e32 v52, v50
	v_mov_b32_e32 v53, v49
	v_pk_add_f32 v[22:23], v[52:53], v[22:23]
	v_pk_mul_f32 v[52:53], v[14:15], s[20:21] op_sel_hi:[1,0]
	v_mov_b32_e32 v20, v103
	v_pk_fma_f32 v[54:55], v[36:37], s[6:7], v[52:53] op_sel_hi:[1,0,1] neg_lo:[0,0,1] neg_hi:[0,0,1]
	v_pk_fma_f32 v[52:53], v[36:37], s[6:7], v[52:53] op_sel_hi:[1,0,1]
	v_mov_b32_e32 v21, v102
	v_mov_b32_e32 v67, v65
	;; [unrolled: 1-line block ×4, first 2 shown]
	v_pk_add_f32 v[2:3], v[66:67], v[2:3]
	v_mov_b32_e32 v73, v71
	v_pk_add_f32 v[22:23], v[56:57], v[22:23]
	v_pk_mul_f32 v[56:57], v[20:21], s[30:31] op_sel_hi:[1,0]
	v_pk_add_f32 v[2:3], v[72:73], v[2:3]
	v_mov_b32_e32 v83, v81
	v_pk_fma_f32 v[58:59], v[38:39], s[24:25], v[56:57] op_sel_hi:[1,0,1] neg_lo:[0,0,1] neg_hi:[0,0,1]
	v_pk_fma_f32 v[56:57], v[38:39], s[24:25], v[56:57] op_sel_hi:[1,0,1]
	v_pk_add_f32 v[2:3], v[82:83], v[2:3]
	v_mov_b32_e32 v89, v87
	v_mov_b32_e32 v60, v58
	;; [unrolled: 1-line block ×3, first 2 shown]
	v_pk_add_f32 v[2:3], v[88:89], v[2:3]
	v_pk_add_f32 v[22:23], v[60:61], v[22:23]
	ds_write2_b64 v109, v[2:3], v[22:23] offset0:2 offset1:3
	v_pk_mul_f32 v[2:3], v[32:33], s[16:17] op_sel_hi:[1,0]
	v_pk_mul_f32 v[62:63], v[4:5], s[38:39] op_sel_hi:[1,0]
	v_pk_fma_f32 v[22:23], v[30:31], s[14:15], v[2:3] op_sel:[0,0,1] op_sel_hi:[1,0,0] neg_lo:[0,0,1] neg_hi:[0,0,1]
	v_pk_fma_f32 v[2:3], v[30:31], s[14:15], v[2:3] op_sel:[0,0,1] op_sel_hi:[1,0,0]
	v_mov_b32_e32 v60, v22
	v_mov_b32_e32 v61, v3
	v_pk_fma_f32 v[64:65], v[28:29], s[24:25], v[62:63] op_sel_hi:[1,0,1] neg_lo:[0,0,1] neg_hi:[0,0,1]
	v_pk_fma_f32 v[62:63], v[28:29], s[24:25], v[62:63] op_sel_hi:[1,0,1]
	v_pk_add_f32 v[60:61], v[60:61], v[0:1]
	v_mov_b32_e32 v66, v64
	v_mov_b32_e32 v67, v63
	v_pk_add_f32 v[60:61], v[66:67], v[60:61]
	v_pk_mul_f32 v[66:67], v[6:7], s[34:35] op_sel_hi:[1,0]
	s_mov_b32 s38, 0x3f52af12
	v_pk_fma_f32 v[70:71], v[16:17], s[10:11], v[66:67] op_sel_hi:[1,0,1] neg_lo:[0,0,1] neg_hi:[0,0,1]
	v_pk_fma_f32 v[66:67], v[16:17], s[10:11], v[66:67] op_sel_hi:[1,0,1]
	v_mov_b32_e32 v72, v70
	v_mov_b32_e32 v73, v67
	v_pk_add_f32 v[60:61], v[72:73], v[60:61]
	v_pk_mul_f32 v[72:73], v[12:13], s[36:37] op_sel_hi:[1,0]
	s_mov_b32 s36, 0x3e750f2a
	v_pk_fma_f32 v[74:75], v[34:35], s[18:19], v[72:73] op_sel_hi:[1,0,1] neg_lo:[0,0,1] neg_hi:[0,0,1]
	v_pk_fma_f32 v[72:73], v[34:35], s[18:19], v[72:73] op_sel_hi:[1,0,1]
	v_mov_b32_e32 v76, v74
	v_mov_b32_e32 v77, v73
	v_pk_add_f32 v[60:61], v[76:77], v[60:61]
	v_pk_mul_f32 v[76:77], v[14:15], s[36:37] op_sel_hi:[1,0]
	v_pk_mul_f32 v[90:91], v[4:5], s[28:29] op_sel_hi:[1,0]
	v_pk_fma_f32 v[78:79], v[36:37], s[22:23], v[76:77] op_sel_hi:[1,0,1] neg_lo:[0,0,1] neg_hi:[0,0,1]
	v_pk_fma_f32 v[76:77], v[36:37], s[22:23], v[76:77] op_sel_hi:[1,0,1]
	v_mov_b32_e32 v80, v78
	v_mov_b32_e32 v81, v77
	v_pk_add_f32 v[60:61], v[80:81], v[60:61]
	v_pk_mul_f32 v[80:81], v[20:21], s[38:39] op_sel_hi:[1,0]
	v_pk_fma_f32 v[92:93], v[28:29], s[18:19], v[90:91] op_sel_hi:[1,0,1] neg_lo:[0,0,1] neg_hi:[0,0,1]
	v_pk_fma_f32 v[82:83], v[38:39], s[6:7], v[80:81] op_sel_hi:[1,0,1] neg_lo:[0,0,1] neg_hi:[0,0,1]
	v_pk_fma_f32 v[80:81], v[38:39], s[6:7], v[80:81] op_sel_hi:[1,0,1]
	v_mov_b32_e32 v84, v82
	v_mov_b32_e32 v85, v81
	v_pk_add_f32 v[60:61], v[84:85], v[60:61]
	v_pk_mul_f32 v[84:85], v[32:33], s[30:31] op_sel_hi:[1,0]
	v_pk_fma_f32 v[90:91], v[28:29], s[18:19], v[90:91] op_sel_hi:[1,0,1]
	v_pk_fma_f32 v[86:87], v[30:31], s[24:25], v[84:85] op_sel:[0,0,1] op_sel_hi:[1,0,0] neg_lo:[0,0,1] neg_hi:[0,0,1]
	v_pk_fma_f32 v[84:85], v[30:31], s[24:25], v[84:85] op_sel:[0,0,1] op_sel_hi:[1,0,0]
	v_mov_b32_e32 v88, v86
	v_mov_b32_e32 v89, v85
	v_pk_add_f32 v[88:89], v[88:89], v[0:1]
	v_mov_b32_e32 v94, v92
	v_mov_b32_e32 v95, v91
	v_pk_add_f32 v[88:89], v[94:95], v[88:89]
	v_pk_mul_f32 v[94:95], v[6:7], s[20:21] op_sel_hi:[1,0]
	v_pk_mul_f32 v[32:33], v[32:33], s[26:27] op_sel_hi:[1,0]
	v_pk_fma_f32 v[96:97], v[16:17], s[6:7], v[94:95] op_sel_hi:[1,0,1] neg_lo:[0,0,1] neg_hi:[0,0,1]
	v_pk_fma_f32 v[94:95], v[16:17], s[6:7], v[94:95] op_sel_hi:[1,0,1]
	v_mov_b32_e32 v98, v96
	v_mov_b32_e32 v99, v95
	v_pk_add_f32 v[88:89], v[98:99], v[88:89]
	v_pk_mul_f32 v[98:99], v[12:13], s[36:37] op_sel_hi:[1,0]
	v_pk_mul_f32 v[4:5], v[4:5], s[34:35] op_sel_hi:[1,0]
	v_pk_fma_f32 v[100:101], v[34:35], s[22:23], v[98:99] op_sel_hi:[1,0,1] neg_lo:[0,0,1] neg_hi:[0,0,1]
	v_pk_fma_f32 v[98:99], v[34:35], s[22:23], v[98:99] op_sel_hi:[1,0,1]
	v_mov_b32_e32 v102, v100
	v_mov_b32_e32 v103, v99
	v_pk_add_f32 v[88:89], v[102:103], v[88:89]
	v_pk_mul_f32 v[102:103], v[14:15], s[34:35] op_sel_hi:[1,0]
	v_pk_mul_f32 v[6:7], v[6:7], s[30:31] op_sel_hi:[1,0]
	v_pk_fma_f32 v[106:107], v[36:37], s[10:11], v[102:103] op_sel_hi:[1,0,1] neg_lo:[0,0,1] neg_hi:[0,0,1]
	v_pk_fma_f32 v[102:103], v[36:37], s[10:11], v[102:103] op_sel_hi:[1,0,1]
	v_mov_b32_e32 v110, v106
	v_mov_b32_e32 v111, v103
	v_pk_add_f32 v[88:89], v[110:111], v[88:89]
	v_pk_mul_f32 v[110:111], v[20:21], s[16:17] op_sel_hi:[1,0]
	v_pk_mul_f32 v[12:13], v[12:13], s[38:39] op_sel_hi:[1,0]
	v_pk_fma_f32 v[112:113], v[38:39], s[14:15], v[110:111] op_sel_hi:[1,0,1] neg_lo:[0,0,1] neg_hi:[0,0,1]
	v_pk_fma_f32 v[110:111], v[38:39], s[14:15], v[110:111] op_sel_hi:[1,0,1]
	v_mov_b32_e32 v114, v112
	v_mov_b32_e32 v115, v111
	v_pk_add_f32 v[88:89], v[114:115], v[88:89]
	ds_write2_b64 v109, v[60:61], v[88:89] offset0:4 offset1:5
	v_pk_fma_f32 v[60:61], v[30:31], s[22:23], v[32:33] op_sel:[0,0,1] op_sel_hi:[1,0,0] neg_lo:[0,0,1] neg_hi:[0,0,1]
	v_pk_fma_f32 v[30:31], v[30:31], s[22:23], v[32:33] op_sel:[0,0,1] op_sel_hi:[1,0,0]
	v_pk_fma_f32 v[32:33], v[28:29], s[10:11], v[4:5] op_sel_hi:[1,0,1] neg_lo:[0,0,1] neg_hi:[0,0,1]
	v_pk_fma_f32 v[4:5], v[28:29], s[10:11], v[4:5] op_sel_hi:[1,0,1]
	v_mov_b32_e32 v28, v60
	v_mov_b32_e32 v29, v31
	v_pk_add_f32 v[28:29], v[28:29], v[0:1]
	v_mov_b32_e32 v88, v32
	v_mov_b32_e32 v89, v5
	v_pk_add_f32 v[28:29], v[88:89], v[28:29]
	v_pk_fma_f32 v[88:89], v[16:17], s[24:25], v[6:7] op_sel_hi:[1,0,1] neg_lo:[0,0,1] neg_hi:[0,0,1]
	v_pk_fma_f32 v[6:7], v[16:17], s[24:25], v[6:7] op_sel_hi:[1,0,1]
	v_mov_b32_e32 v16, v88
	v_mov_b32_e32 v17, v7
	v_pk_add_f32 v[16:17], v[16:17], v[28:29]
	v_pk_fma_f32 v[28:29], v[34:35], s[6:7], v[12:13] op_sel_hi:[1,0,1] neg_lo:[0,0,1] neg_hi:[0,0,1]
	v_pk_fma_f32 v[12:13], v[34:35], s[6:7], v[12:13] op_sel_hi:[1,0,1]
	v_mov_b32_e32 v31, v61
	v_mov_b32_e32 v34, v28
	;; [unrolled: 1-line block ×3, first 2 shown]
	v_pk_mul_f32 v[14:15], v[14:15], s[16:17] op_sel_hi:[1,0]
	v_mov_b32_e32 v5, v33
	v_pk_add_f32 v[30:31], v[30:31], v[0:1]
	v_pk_add_f32 v[16:17], v[34:35], v[16:17]
	v_pk_fma_f32 v[34:35], v[36:37], s[14:15], v[14:15] op_sel_hi:[1,0,1] neg_lo:[0,0,1] neg_hi:[0,0,1]
	v_pk_fma_f32 v[14:15], v[36:37], s[14:15], v[14:15] op_sel_hi:[1,0,1]
	v_pk_add_f32 v[4:5], v[4:5], v[30:31]
	v_mov_b32_e32 v7, v89
	v_mov_b32_e32 v36, v34
	;; [unrolled: 1-line block ×3, first 2 shown]
	v_pk_mul_f32 v[20:21], v[20:21], s[28:29] op_sel_hi:[1,0]
	v_pk_add_f32 v[4:5], v[6:7], v[4:5]
	v_mov_b32_e32 v13, v29
	v_pk_add_f32 v[16:17], v[36:37], v[16:17]
	v_pk_fma_f32 v[36:37], v[38:39], s[18:19], v[20:21] op_sel_hi:[1,0,1] neg_lo:[0,0,1] neg_hi:[0,0,1]
	v_pk_fma_f32 v[20:21], v[38:39], s[18:19], v[20:21] op_sel_hi:[1,0,1]
	v_pk_add_f32 v[4:5], v[12:13], v[4:5]
	v_mov_b32_e32 v15, v35
	v_mov_b32_e32 v38, v36
	;; [unrolled: 1-line block ×3, first 2 shown]
	v_pk_add_f32 v[4:5], v[14:15], v[4:5]
	v_mov_b32_e32 v21, v37
	v_pk_add_f32 v[16:17], v[38:39], v[16:17]
	v_pk_add_f32 v[4:5], v[20:21], v[4:5]
	v_mov_b32_e32 v85, v87
	v_mov_b32_e32 v3, v23
	;; [unrolled: 1-line block ×3, first 2 shown]
	ds_write2_b64 v109, v[16:17], v[4:5] offset0:6 offset1:7
	v_pk_add_f32 v[4:5], v[84:85], v[0:1]
	v_mov_b32_e32 v91, v93
	v_pk_add_f32 v[2:3], v[2:3], v[0:1]
	v_mov_b32_e32 v63, v65
	;; [unrolled: 2-line block ×15, first 2 shown]
	v_pk_add_f32 v[4:5], v[110:111], v[4:5]
	v_pk_add_f32 v[2:3], v[80:81], v[2:3]
	;; [unrolled: 1-line block ×3, first 2 shown]
	ds_write2_b64 v109, v[4:5], v[2:3] offset0:8 offset1:9
	ds_write2_b64 v109, v[0:1], v[18:19] offset0:10 offset1:11
	ds_write_b64 v109, v[46:47] offset:96
.LBB0_7:
	s_or_b64 exec, exec, s[0:1]
	v_mul_u32_u24_e32 v0, 10, v108
	v_lshlrev_b32_e32 v16, 3, v0
	s_load_dwordx4 s[0:3], s[2:3], 0x0
	s_waitcnt lgkmcnt(0)
	s_barrier
	global_load_dwordx4 v[4:7], v16, s[4:5] offset:48
	global_load_dwordx4 v[12:15], v16, s[4:5] offset:16
	;; [unrolled: 1-line block ×3, first 2 shown]
	global_load_dwordx4 v[0:3], v16, s[4:5]
	v_add_lshl_u32 v110, v105, v108, 3
	ds_read2_b64 v[24:27], v110 offset0:52 offset1:65
	ds_read2_b64 v[34:37], v110 offset0:104 offset1:117
	global_load_dwordx4 v[20:23], v16, s[4:5] offset:64
	ds_read2_b64 v[38:41], v110 offset0:78 offset1:91
	ds_read2_b64 v[30:33], v110 offset1:13
	ds_read2_b64 v[48:51], v110 offset0:26 offset1:39
	s_mov_b32 s6, 0xbf7d64f0
	s_mov_b32 s24, 0xbf4178ce
	;; [unrolled: 1-line block ×13, first 2 shown]
	v_lshl_add_u32 v109, v108, 3, v104
	s_waitcnt vmcnt(4)
	v_mov_b32_e32 v16, v7
	s_waitcnt lgkmcnt(3)
	v_pk_mul_f32 v[28:29], v[34:35], v[6:7] op_sel:[1,0] op_sel_hi:[0,1]
	s_waitcnt vmcnt(3)
	v_mov_b32_e32 v42, v15
	s_waitcnt vmcnt(2)
	v_pk_mul_f32 v[52:53], v[26:27], v[8:9] op_sel:[0,1]
	v_mov_b32_e32 v54, v11
	s_waitcnt lgkmcnt(2)
	v_pk_mul_f32 v[56:57], v[40:41], v[4:5] op_sel:[0,1]
	s_waitcnt vmcnt(1) lgkmcnt(1)
	v_pk_mul_f32 v[58:59], v[32:33], v[0:1] op_sel:[0,1]
	v_mov_b32_e32 v60, v3
	v_pk_mul_f32 v[16:17], v[34:35], v[16:17] op_sel:[1,0] op_sel_hi:[0,1]
	v_mov_b32_e32 v29, v28
	v_pk_mul_f32 v[42:43], v[24:25], v[42:43] op_sel_hi:[1,0]
	v_pk_fma_f32 v[64:65], v[26:27], v[8:9], v[52:53] op_sel:[0,0,1] op_sel_hi:[1,1,0] neg_lo:[0,0,1] neg_hi:[0,0,1]
	v_pk_fma_f32 v[26:27], v[26:27], v[8:9], v[52:53] op_sel:[0,0,1] op_sel_hi:[1,0,0]
	v_pk_mul_f32 v[52:53], v[38:39], v[54:55] op_sel_hi:[1,0]
	v_pk_fma_f32 v[54:55], v[40:41], v[4:5], v[56:57] op_sel:[0,0,1] op_sel_hi:[1,1,0] neg_lo:[0,0,1] neg_hi:[0,0,1]
	v_pk_fma_f32 v[40:41], v[40:41], v[4:5], v[56:57] op_sel:[0,0,1] op_sel_hi:[1,0,0]
	v_pk_fma_f32 v[56:57], v[32:33], v[0:1], v[58:59] op_sel:[0,0,1] op_sel_hi:[1,1,0] neg_lo:[0,0,1] neg_hi:[0,0,1]
	v_pk_fma_f32 v[32:33], v[32:33], v[0:1], v[58:59] op_sel:[0,0,1] op_sel_hi:[1,0,0]
	s_waitcnt lgkmcnt(0)
	v_pk_mul_f32 v[58:59], v[48:49], v[60:61] op_sel_hi:[1,0]
	v_pk_mul_f32 v[62:63], v[50:51], v[12:13] op_sel:[0,1]
	v_pk_fma_f32 v[16:17], v[34:35], v[6:7], v[16:17] neg_lo:[0,0,1] neg_hi:[0,0,1]
	v_pk_fma_f32 v[28:29], v[34:35], v[6:7], v[28:29] op_sel:[1,0,0] op_sel_hi:[0,1,1]
	v_pk_fma_f32 v[34:35], v[24:25], v[14:15], v[42:43] op_sel:[0,0,1] op_sel_hi:[1,1,0] neg_lo:[0,0,1] neg_hi:[0,0,1]
	v_pk_fma_f32 v[24:25], v[24:25], v[14:15], v[42:43] op_sel:[0,0,1] op_sel_hi:[1,0,0]
	v_mov_b32_e32 v57, v33
	v_pk_fma_f32 v[42:43], v[48:49], v[2:3], v[58:59] op_sel:[0,0,1] op_sel_hi:[1,1,0] neg_lo:[0,0,1] neg_hi:[0,0,1]
	v_pk_fma_f32 v[32:33], v[48:49], v[2:3], v[58:59] op_sel:[0,0,1] op_sel_hi:[1,0,0]
	v_pk_fma_f32 v[60:61], v[50:51], v[12:13], v[62:63] op_sel:[0,0,1] op_sel_hi:[1,1,0] neg_lo:[0,0,1] neg_hi:[0,0,1]
	v_pk_fma_f32 v[50:51], v[50:51], v[12:13], v[62:63] op_sel:[0,0,1] op_sel_hi:[1,0,0]
	v_mov_b32_e32 v35, v25
	v_mov_b32_e32 v43, v33
	v_pk_add_f32 v[24:25], v[30:31], v[56:57]
	v_mov_b32_e32 v55, v41
	v_mov_b32_e32 v61, v51
	v_mov_b32_e32 v17, v29
	v_pk_add_f32 v[24:25], v[24:25], v[42:43]
	v_mov_b32_e32 v65, v27
	v_pk_fma_f32 v[26:27], v[38:39], v[10:11], v[52:53] op_sel:[0,0,1] op_sel_hi:[1,1,0] neg_lo:[0,0,1] neg_hi:[0,0,1]
	v_pk_fma_f32 v[38:39], v[38:39], v[10:11], v[52:53] op_sel:[0,0,1] op_sel_hi:[1,0,0]
	v_pk_add_f32 v[48:49], v[60:61], v[16:17] neg_lo:[0,1] neg_hi:[0,1]
	v_pk_add_f32 v[40:41], v[34:35], v[54:55] neg_lo:[0,1] neg_hi:[0,1]
	v_pk_add_f32 v[24:25], v[24:25], v[60:61]
	v_mov_b32_e32 v27, v39
	v_pk_add_f32 v[28:29], v[60:61], v[16:17]
	v_pk_add_f32 v[38:39], v[34:35], v[54:55]
	v_pk_mul_f32 v[32:33], v[48:49], s[6:7] op_sel:[1,0] op_sel_hi:[0,0]
	v_pk_mul_f32 v[52:53], v[40:41], s[24:25] op_sel:[1,0] op_sel_hi:[0,0]
	;; [unrolled: 1-line block ×3, first 2 shown]
	v_pk_add_f32 v[24:25], v[24:25], v[34:35]
	v_pk_mul_f32 v[74:75], v[40:41], s[4:5] op_sel:[1,0] op_sel_hi:[0,0]
	v_pk_mul_f32 v[58:59], v[38:39], s[10:11] op_sel_hi:[1,0]
	v_pk_fma_f32 v[34:35], v[28:29], s[10:11], v[32:33] op_sel_hi:[1,0,1]
	v_pk_fma_f32 v[62:63], v[28:29], s[10:11], v[32:33] op_sel_hi:[1,0,1] neg_lo:[0,0,1] neg_hi:[0,0,1]
	v_pk_fma_f32 v[66:67], v[38:39], s[22:23], v[52:53] op_sel_hi:[1,0,1]
	v_pk_fma_f32 v[52:53], v[38:39], s[22:23], v[52:53] op_sel_hi:[1,0,1] neg_lo:[0,0,1] neg_hi:[0,0,1]
	;; [unrolled: 2-line block ×3, first 2 shown]
	v_pk_add_f32 v[24:25], v[24:25], v[64:65]
	v_pk_fma_f32 v[76:77], v[38:39], s[18:19], v[74:75] op_sel_hi:[1,0,1]
	v_pk_fma_f32 v[74:75], v[38:39], s[18:19], v[74:75] op_sel_hi:[1,0,1] neg_lo:[0,0,1] neg_hi:[0,0,1]
	v_pk_mul_f32 v[38:39], v[38:39], s[16:17] op_sel_hi:[1,0]
	v_pk_fma_f32 v[70:71], v[40:41], s[28:29], v[58:59] op_sel:[1,0,0] op_sel_hi:[0,0,1] neg_lo:[1,0,0] neg_hi:[1,0,0]
	v_pk_fma_f32 v[58:59], v[40:41], s[28:29], v[58:59] op_sel:[1,0,0] op_sel_hi:[0,0,1]
	v_pk_add_f32 v[24:25], v[24:25], v[26:27]
	v_pk_fma_f32 v[78:79], v[40:41], s[14:15], v[38:39] op_sel:[1,0,0] op_sel_hi:[0,0,1] neg_lo:[1,0,0] neg_hi:[1,0,0]
	v_pk_fma_f32 v[80:81], v[40:41], s[14:15], v[38:39] op_sel:[1,0,0] op_sel_hi:[0,0,1]
	v_pk_add_f32 v[40:41], v[64:65], v[26:27]
	v_pk_add_f32 v[38:39], v[64:65], v[26:27] neg_lo:[0,1] neg_hi:[0,1]
	ds_read_b64 v[26:27], v110 offset:1040
	s_waitcnt vmcnt(0)
	v_pk_mul_f32 v[64:65], v[36:37], v[20:21] op_sel:[0,1]
	v_mov_b32_e32 v60, v34
	v_mov_b32_e32 v82, v78
	;; [unrolled: 1-line block ×4, first 2 shown]
	v_pk_fma_f32 v[78:79], v[36:37], v[20:21], v[64:65] op_sel:[0,0,1] op_sel_hi:[1,1,0] neg_lo:[0,0,1] neg_hi:[0,0,1]
	v_pk_fma_f32 v[36:37], v[36:37], v[20:21], v[64:65] op_sel:[0,0,1] op_sel_hi:[1,0,0]
	v_mov_b32_e32 v34, v23
	v_mov_b32_e32 v79, v37
	s_waitcnt lgkmcnt(0)
	v_pk_mul_f32 v[36:37], v[26:27], v[34:35] op_sel_hi:[1,0]
	v_pk_add_f32 v[24:25], v[24:25], v[54:55]
	v_pk_fma_f32 v[64:65], v[26:27], v[22:23], v[36:37] op_sel:[0,0,1] op_sel_hi:[1,1,0] neg_lo:[0,0,1] neg_hi:[0,0,1]
	v_pk_fma_f32 v[26:27], v[26:27], v[22:23], v[36:37] op_sel:[0,0,1] op_sel_hi:[1,0,0]
	v_pk_add_f32 v[16:17], v[24:25], v[16:17]
	v_mov_b32_e32 v65, v27
	v_pk_add_f32 v[26:27], v[56:57], v[64:65] neg_lo:[0,1] neg_hi:[0,1]
	v_pk_add_f32 v[36:37], v[56:57], v[64:65]
	v_pk_mul_f32 v[24:25], v[26:27], s[30:31] op_sel:[1,0] op_sel_hi:[0,0]
	v_pk_add_f32 v[84:85], v[42:43], v[78:79]
	v_pk_add_f32 v[42:43], v[42:43], v[78:79] neg_lo:[0,1] neg_hi:[0,1]
	v_pk_add_f32 v[16:17], v[16:17], v[78:79]
	v_pk_fma_f32 v[54:55], v[36:37], s[26:27], v[24:25] op_sel_hi:[1,0,1]
	v_pk_fma_f32 v[24:25], v[36:37], s[26:27], v[24:25] op_sel_hi:[1,0,1] neg_lo:[0,0,1] neg_hi:[0,0,1]
	v_pk_mul_f32 v[78:79], v[42:43], s[34:35] op_sel:[1,0] op_sel_hi:[0,0]
	v_mov_b32_e32 v56, v54
	v_mov_b32_e32 v57, v25
	v_pk_fma_f32 v[86:87], v[84:85], s[16:17], v[78:79] op_sel_hi:[1,0,1]
	v_pk_fma_f32 v[78:79], v[84:85], s[16:17], v[78:79] op_sel_hi:[1,0,1] neg_lo:[0,0,1] neg_hi:[0,0,1]
	v_pk_mul_f32 v[50:51], v[48:49], s[20:21] op_sel:[1,0] op_sel_hi:[0,0]
	v_pk_add_f32 v[56:57], v[30:31], v[56:57]
	v_mov_b32_e32 v88, v86
	v_mov_b32_e32 v89, v79
	;; [unrolled: 1-line block ×3, first 2 shown]
	v_pk_add_f32 v[56:57], v[88:89], v[56:57]
	v_pk_fma_f32 v[88:89], v[28:29], s[18:19], v[50:51] op_sel_hi:[1,0,1]
	v_pk_fma_f32 v[50:51], v[28:29], s[18:19], v[50:51] op_sel_hi:[1,0,1] neg_lo:[0,0,1] neg_hi:[0,0,1]
	v_pk_add_f32 v[56:57], v[60:61], v[56:57]
	v_mov_b32_e32 v60, v88
	v_mov_b32_e32 v61, v51
	;; [unrolled: 1-line block ×3, first 2 shown]
	v_pk_mul_f32 v[88:89], v[48:49], s[14:15] op_sel:[1,0] op_sel_hi:[0,0]
	v_pk_fma_f32 v[90:91], v[28:29], s[16:17], v[88:89] op_sel_hi:[1,0,1]
	v_pk_fma_f32 v[88:89], v[28:29], s[16:17], v[88:89] op_sel_hi:[1,0,1] neg_lo:[0,0,1] neg_hi:[0,0,1]
	v_mov_b32_e32 v93, v37
	v_mov_b32_e32 v37, v26
	s_mov_b32 s17, s34
	v_mov_b32_e32 v92, v27
	v_mov_b32_e32 v54, v27
	s_mov_b32 s35, s16
	v_pk_mul_f32 v[26:27], v[36:37], s[16:17]
	v_mov_b32_e32 v25, v55
	v_pk_fma_f32 v[94:95], v[54:55], s[34:35], v[26:27] neg_lo:[1,0,0] neg_hi:[1,0,0]
	v_pk_fma_f32 v[96:97], v[92:93], s[34:35], v[26:27]
	v_pk_fma_f32 v[26:27], v[92:93], s[34:35], v[26:27] neg_lo:[0,0,1] neg_hi:[0,0,1]
	v_mov_b32_e32 v95, v97
	v_mov_b32_e32 v97, v27
	v_pk_mul_f32 v[26:27], v[42:43], s[24:25] op_sel:[1,0] op_sel_hi:[0,0]
	v_pk_fma_f32 v[98:99], v[84:85], s[22:23], v[26:27] op_sel_hi:[1,0,1]
	v_pk_fma_f32 v[26:27], v[84:85], s[22:23], v[26:27] op_sel_hi:[1,0,1] neg_lo:[0,0,1] neg_hi:[0,0,1]
	v_pk_add_f32 v[94:95], v[30:31], v[94:95]
	v_mov_b32_e32 v101, v27
	v_mov_b32_e32 v27, v99
	;; [unrolled: 1-line block ×3, first 2 shown]
	v_pk_add_f32 v[24:25], v[30:31], v[24:25]
	v_mov_b32_e32 v100, v98
	v_pk_add_f32 v[26:27], v[26:27], v[94:95]
	v_pk_add_f32 v[94:95], v[30:31], v[96:97]
	v_mov_b32_e32 v63, v35
	v_pk_add_f32 v[24:25], v[78:79], v[24:25]
	v_pk_add_f32 v[94:95], v[100:101], v[94:95]
	v_mov_b32_e32 v35, v53
	v_mov_b32_e32 v53, v67
	v_pk_add_f32 v[24:25], v[62:63], v[24:25]
	v_pk_add_f32 v[26:27], v[50:51], v[26:27]
	;; [unrolled: 1-line block ×4, first 2 shown]
	v_mov_b32_e32 v24, v58
	v_mov_b32_e32 v25, v71
	v_pk_mul_f32 v[60:61], v[48:49], s[24:25] op_sel:[1,0] op_sel_hi:[0,0]
	v_mov_b32_e32 v71, v59
	v_pk_add_f32 v[50:51], v[24:25], v[50:51]
	v_pk_mul_f32 v[24:25], v[48:49], s[30:31] op_sel:[1,0] op_sel_hi:[0,0]
	v_pk_fma_f32 v[94:95], v[28:29], s[22:23], v[60:61] op_sel_hi:[1,0,1] neg_lo:[0,0,1] neg_hi:[0,0,1]
	v_pk_fma_f32 v[60:61], v[28:29], s[22:23], v[60:61] op_sel_hi:[1,0,1]
	v_pk_add_f32 v[58:59], v[70:71], v[26:27]
	v_pk_fma_f32 v[26:27], v[28:29], s[26:27], v[24:25] op_sel_hi:[1,0,1] neg_lo:[0,0,1] neg_hi:[0,0,1]
	v_pk_fma_f32 v[24:25], v[28:29], s[26:27], v[24:25] op_sel_hi:[1,0,1]
	s_mov_b32 s23, s24
	v_mov_b32_e32 v28, v26
	v_mov_b32_e32 v29, v25
	;; [unrolled: 1-line block ×3, first 2 shown]
	s_mov_b32 s25, s22
	v_pk_mul_f32 v[26:27], v[36:37], s[22:23]
	v_mov_b32_e32 v34, v66
	v_pk_fma_f32 v[48:49], v[54:55], s[24:25], v[26:27] neg_lo:[1,0,0] neg_hi:[1,0,0]
	v_pk_fma_f32 v[62:63], v[92:93], s[24:25], v[26:27]
	v_pk_fma_f32 v[26:27], v[92:93], s[24:25], v[26:27] neg_lo:[0,0,1] neg_hi:[0,0,1]
	v_mov_b32_e32 v49, v63
	v_mov_b32_e32 v63, v27
	v_pk_mul_f32 v[26:27], v[42:43], s[28:29] op_sel:[1,0] op_sel_hi:[0,0]
	v_pk_fma_f32 v[66:67], v[84:85], s[10:11], v[26:27] op_sel_hi:[1,0,1] neg_lo:[0,0,1] neg_hi:[0,0,1]
	v_pk_fma_f32 v[26:27], v[84:85], s[10:11], v[26:27] op_sel_hi:[1,0,1]
	v_mov_b32_e32 v96, v94
	v_mov_b32_e32 v97, v61
	;; [unrolled: 1-line block ×3, first 2 shown]
	v_pk_mul_f32 v[94:95], v[40:41], s[18:19] op_sel_hi:[1,0]
	v_pk_add_f32 v[48:49], v[30:31], v[48:49]
	v_mov_b32_e32 v70, v66
	v_mov_b32_e32 v71, v27
	;; [unrolled: 1-line block ×3, first 2 shown]
	v_pk_add_f32 v[62:63], v[30:31], v[62:63]
	v_pk_fma_f32 v[98:99], v[38:39], s[4:5], v[94:95] op_sel:[1,0,0] op_sel_hi:[0,0,1] neg_lo:[1,0,0] neg_hi:[1,0,0]
	v_pk_fma_f32 v[94:95], v[38:39], s[4:5], v[94:95] op_sel:[1,0,0] op_sel_hi:[0,0,1]
	s_mov_b32 s19, s4
	v_pk_add_f32 v[48:49], v[70:71], v[48:49]
	v_pk_add_f32 v[26:27], v[26:27], v[62:63]
	s_mov_b32 s11, s6
	s_mov_b32 s34, 0x3f0a6770
	;; [unrolled: 1-line block ×3, first 2 shown]
	v_pk_mul_f32 v[100:101], v[36:37], s[18:19]
	v_pk_add_f32 v[34:35], v[34:35], v[56:57]
	v_mov_b32_e32 v57, v75
	v_mov_b32_e32 v75, v77
	v_pk_add_f32 v[28:29], v[28:29], v[48:49]
	v_pk_add_f32 v[24:25], v[24:25], v[26:27]
	v_mov_b32_e32 v67, v99
	v_pk_mul_f32 v[26:27], v[40:41], s[26:27] op_sel_hi:[1,0]
	v_mov_b32_e32 v99, v95
	s_mov_b32 s7, s10
	v_pk_mul_f32 v[36:37], v[36:37], s[10:11]
	v_pk_fma_f32 v[102:103], v[54:55], s[4:5], v[100:101] neg_lo:[1,0,0] neg_hi:[1,0,0]
	v_mov_b32_e32 v56, v76
	v_pk_add_f32 v[70:71], v[74:75], v[28:29]
	v_pk_fma_f32 v[74:75], v[38:39], s[34:35], v[26:27] op_sel:[1,0,0] op_sel_hi:[0,0,1] neg_lo:[1,0,0] neg_hi:[1,0,0]
	v_pk_fma_f32 v[76:77], v[38:39], s[34:35], v[26:27] op_sel:[1,0,0] op_sel_hi:[0,0,1]
	v_pk_add_f32 v[26:27], v[98:99], v[52:53]
	v_pk_fma_f32 v[52:53], v[54:55], s[6:7], v[36:37] neg_lo:[1,0,0] neg_hi:[1,0,0]
	v_pk_fma_f32 v[54:55], v[92:93], s[6:7], v[36:37]
	v_pk_fma_f32 v[36:37], v[92:93], s[6:7], v[36:37] neg_lo:[0,0,1] neg_hi:[0,0,1]
	v_pk_fma_f32 v[106:107], v[92:93], s[4:5], v[100:101]
	v_pk_fma_f32 v[100:101], v[92:93], s[4:5], v[100:101] neg_lo:[0,0,1] neg_hi:[0,0,1]
	v_mov_b32_e32 v53, v55
	v_mov_b32_e32 v55, v37
	v_pk_mul_f32 v[36:37], v[42:43], s[20:21] op_sel:[1,0] op_sel_hi:[0,0]
	v_mov_b32_e32 v103, v107
	v_pk_mul_f32 v[112:113], v[42:43], s[34:35] op_sel:[1,0] op_sel_hi:[0,0]
	v_mov_b32_e32 v107, v101
	v_pk_fma_f32 v[42:43], v[84:85], s[18:19], v[36:37] op_sel_hi:[1,0,1] neg_lo:[0,0,1] neg_hi:[0,0,1]
	v_pk_fma_f32 v[36:37], v[84:85], s[18:19], v[36:37] op_sel_hi:[1,0,1]
	v_pk_add_f32 v[102:103], v[30:31], v[102:103]
	v_pk_add_f32 v[100:101], v[30:31], v[106:107]
	;; [unrolled: 1-line block ×4, first 2 shown]
	v_mov_b32_e32 v54, v42
	v_mov_b32_e32 v55, v37
	;; [unrolled: 1-line block ×9, first 2 shown]
	v_pk_add_f32 v[52:53], v[54:55], v[52:53]
	v_pk_add_f32 v[30:31], v[36:37], v[30:31]
	v_mov_b32_e32 v48, v72
	v_mov_b32_e32 v49, v33
	v_pk_add_f32 v[56:57], v[56:57], v[24:25]
	v_pk_add_f32 v[24:25], v[16:17], v[64:65]
	v_pk_add_f32 v[16:17], v[66:67], v[34:35]
	v_pk_add_f32 v[34:35], v[76:77], v[50:51]
	v_pk_mul_f32 v[50:51], v[38:39], s[24:25] op_sel:[1,0] op_sel_hi:[0,0]
	v_mov_b32_e32 v33, v73
	v_pk_add_f32 v[36:37], v[88:89], v[52:53]
	v_pk_add_f32 v[30:31], v[62:63], v[30:31]
	;; [unrolled: 1-line block ×4, first 2 shown]
	v_pk_fma_f32 v[42:43], v[40:41], s[22:23], v[50:51] op_sel_hi:[1,0,1] neg_lo:[0,0,1] neg_hi:[0,0,1]
	v_pk_fma_f32 v[48:49], v[40:41], s[22:23], v[50:51] op_sel_hi:[1,0,1]
	v_mov_b32_e32 v30, v42
	v_mov_b32_e32 v31, v49
	v_mov_b32_e32 v49, v43
	v_pk_fma_f32 v[114:115], v[84:85], s[26:27], v[112:113] op_sel_hi:[1,0,1] neg_lo:[0,0,1] neg_hi:[0,0,1]
	v_pk_fma_f32 v[112:113], v[84:85], s[26:27], v[112:113] op_sel_hi:[1,0,1]
	v_pk_add_f32 v[30:31], v[30:31], v[32:33]
	v_pk_add_f32 v[32:33], v[48:49], v[36:37]
	v_pk_mul_f32 v[36:37], v[40:41], s[16:17] op_sel_hi:[1,0]
	v_mov_b32_e32 v116, v114
	v_mov_b32_e32 v117, v113
	;; [unrolled: 1-line block ×3, first 2 shown]
	v_pk_fma_f32 v[42:43], v[38:39], s[14:15], v[36:37] op_sel:[1,0,0] op_sel_hi:[0,0,1] neg_lo:[1,0,0] neg_hi:[1,0,0]
	v_pk_fma_f32 v[48:49], v[38:39], s[14:15], v[36:37] op_sel:[1,0,0] op_sel_hi:[0,0,1]
	v_pk_add_f32 v[102:103], v[116:117], v[102:103]
	v_pk_add_f32 v[100:101], v[112:113], v[100:101]
	v_mov_b32_e32 v37, v49
	v_mov_b32_e32 v49, v43
	v_pk_mul_f32 v[40:41], v[40:41], s[10:11] op_sel_hi:[1,0]
	v_pk_add_f32 v[96:97], v[96:97], v[102:103]
	v_pk_add_f32 v[60:61], v[60:61], v[100:101]
	v_mov_b32_e32 v36, v42
	v_pk_add_f32 v[42:43], v[48:49], v[56:57]
	v_pk_fma_f32 v[48:49], v[38:39], s[6:7], v[40:41] op_sel:[1,0,0] op_sel_hi:[0,0,1] neg_lo:[1,0,0] neg_hi:[1,0,0]
	v_pk_fma_f32 v[40:41], v[38:39], s[6:7], v[40:41] op_sel:[1,0,0] op_sel_hi:[0,0,1]
	v_pk_add_f32 v[64:65], v[82:83], v[96:97]
	v_pk_add_f32 v[60:61], v[80:81], v[60:61]
	v_mov_b32_e32 v28, v74
	v_mov_b32_e32 v38, v48
	;; [unrolled: 1-line block ×4, first 2 shown]
	v_pk_add_f32 v[28:29], v[28:29], v[58:59]
	v_pk_add_f32 v[36:37], v[36:37], v[70:71]
	;; [unrolled: 1-line block ×4, first 2 shown]
	ds_write2_b64 v109, v[24:25], v[26:27] offset1:13
	ds_write2_b64 v109, v[28:29], v[30:31] offset0:26 offset1:39
	ds_write2_b64 v109, v[36:37], v[38:39] offset0:52 offset1:65
	;; [unrolled: 1-line block ×4, first 2 shown]
	ds_write_b64 v109, v[16:17] offset:1040
	s_waitcnt lgkmcnt(0)
	s_barrier
	s_and_saveexec_b64 s[4:5], vcc
	s_cbranch_execz .LBB0_9
; %bb.8:
	global_load_dwordx2 v[74:75], v45, s[8:9] offset:1144
	s_add_u32 s6, s8, 0x478
	s_addc_u32 s7, s9, 0
	global_load_dwordx2 v[76:77], v45, s[6:7] offset:88
	global_load_dwordx2 v[78:79], v45, s[6:7] offset:176
	;; [unrolled: 1-line block ×12, first 2 shown]
	ds_read2_b64 v[48:51], v109 offset1:11
	ds_read2_b64 v[52:55], v109 offset0:22 offset1:33
	ds_read2_b64 v[56:59], v109 offset0:44 offset1:55
	;; [unrolled: 1-line block ×5, first 2 shown]
	ds_read_b64 v[100:101], v109 offset:1056
	s_waitcnt vmcnt(9) lgkmcnt(5)
	v_mul_f32_e32 v105, v55, v81
	s_waitcnt vmcnt(8) lgkmcnt(4)
	v_mul_f32_e32 v106, v57, v83
	s_waitcnt vmcnt(7)
	v_mul_f32_e32 v107, v59, v85
	s_waitcnt vmcnt(6) lgkmcnt(3)
	v_mul_f32_e32 v111, v61, v87
	s_waitcnt vmcnt(5)
	v_mul_f32_e32 v112, v63, v89
	s_waitcnt vmcnt(4) lgkmcnt(2)
	v_mul_f32_e32 v113, v65, v91
	v_mul_f32_e32 v69, v49, v75
	;; [unrolled: 1-line block ×3, first 2 shown]
	v_fma_f32 v102, v48, v74, -v69
	v_fmac_f32_e32 v103, v49, v74
	v_mul_f32_e32 v48, v51, v77
	v_mul_f32_e32 v49, v50, v77
	;; [unrolled: 1-line block ×10, first 2 shown]
	s_waitcnt vmcnt(3)
	v_mul_f32_e32 v114, v67, v93
	v_mul_f32_e32 v89, v66, v93
	s_waitcnt vmcnt(2) lgkmcnt(1)
	v_mul_f32_e32 v115, v71, v95
	v_mul_f32_e32 v91, v70, v95
	s_waitcnt vmcnt(1)
	v_mul_f32_e32 v116, v73, v97
	v_mul_f32_e32 v93, v72, v97
	s_waitcnt vmcnt(0) lgkmcnt(0)
	v_mul_f32_e32 v97, v101, v99
	v_mul_f32_e32 v95, v100, v99
	v_fma_f32 v48, v50, v76, -v48
	v_fmac_f32_e32 v49, v51, v76
	v_fma_f32 v74, v52, v78, -v69
	v_fmac_f32_e32 v75, v53, v78
	;; [unrolled: 2-line block ×12, first 2 shown]
	ds_write2_b64 v109, v[102:103], v[48:49] offset1:11
	ds_write2_b64 v109, v[74:75], v[76:77] offset0:22 offset1:33
	ds_write2_b64 v109, v[78:79], v[80:81] offset0:44 offset1:55
	;; [unrolled: 1-line block ×5, first 2 shown]
	ds_write_b64 v109, v[94:95] offset:1056
.LBB0_9:
	s_or_b64 exec, exec, s[4:5]
	s_waitcnt lgkmcnt(0)
	s_barrier
	s_and_saveexec_b64 s[4:5], vcc
	s_cbranch_execz .LBB0_11
; %bb.10:
	ds_read2_b64 v[24:27], v109 offset1:11
	ds_read2_b64 v[28:31], v109 offset0:22 offset1:33
	ds_read2_b64 v[36:39], v109 offset0:44 offset1:55
	;; [unrolled: 1-line block ×5, first 2 shown]
	ds_read_b64 v[46:47], v109 offset:1056
.LBB0_11:
	s_or_b64 exec, exec, s[4:5]
	v_mov_b32_e32 v56, v14
	v_mov_b32_e32 v57, v14
	;; [unrolled: 1-line block ×27, first 2 shown]
	s_waitcnt lgkmcnt(0)
	s_barrier
	s_and_saveexec_b64 s[4:5], vcc
	s_cbranch_execz .LBB0_13
; %bb.12:
	v_pk_add_f32 v[66:67], v[26:27], v[24:25]
	v_pk_add_f32 v[114:115], v[26:27], v[46:47] neg_lo:[0,1] neg_hi:[0,1]
	v_pk_add_f32 v[66:67], v[28:29], v[66:67]
	s_mov_b32 s6, 0xbeedf032
	v_pk_add_f32 v[66:67], v[30:31], v[66:67]
	v_pk_add_f32 v[112:113], v[46:47], v[26:27]
	;; [unrolled: 1-line block ×5, first 2 shown]
	v_pk_add_f32 v[116:117], v[28:29], v[18:19] neg_lo:[0,1] neg_hi:[0,1]
	v_pk_add_f32 v[66:67], v[40:41], v[66:67]
	s_mov_b32 s14, 0x3f62ad3f
	v_pk_add_f32 v[66:67], v[42:43], v[66:67]
	v_lshl_add_u32 v111, v68, 3, v104
	v_pk_add_f32 v[66:67], v[32:33], v[66:67]
	v_pk_add_f32 v[102:103], v[16:17], v[30:31]
	;; [unrolled: 1-line block ×3, first 2 shown]
	v_pk_add_f32 v[104:105], v[30:31], v[16:17] neg_lo:[0,1] neg_hi:[0,1]
	v_pk_add_f32 v[66:67], v[16:17], v[66:67]
	s_mov_b32 s24, 0xbf52af12
	v_pk_add_f32 v[66:67], v[18:19], v[66:67]
	v_pk_mul_f32 v[18:19], v[114:115], s[6:7] op_sel_hi:[1,0]
	s_mov_b32 s10, 0x3f116cb1
	v_pk_fma_f32 v[16:17], v[112:113], s[14:15], v[18:19] op_sel:[0,0,1] op_sel_hi:[1,0,0]
	v_pk_fma_f32 v[18:19], v[112:113], s[14:15], v[18:19] op_sel:[0,0,1] op_sel_hi:[1,0,0] neg_lo:[0,0,1] neg_hi:[0,0,1]
	v_mov_b32_e32 v26, v16
	v_mov_b32_e32 v27, v19
	v_pk_mul_f32 v[28:29], v[116:117], s[24:25] op_sel_hi:[1,0]
	v_pk_add_f32 v[30:31], v[24:25], v[26:27]
	v_pk_fma_f32 v[26:27], v[106:107], s[10:11], v[28:29] op_sel:[0,0,1] op_sel_hi:[1,0,0]
	v_pk_fma_f32 v[28:29], v[106:107], s[10:11], v[28:29] op_sel:[0,0,1] op_sel_hi:[1,0,0] neg_lo:[0,0,1] neg_hi:[0,0,1]
	v_pk_add_f32 v[94:95], v[32:33], v[38:39]
	v_pk_add_f32 v[96:97], v[38:39], v[32:33] neg_lo:[0,1] neg_hi:[0,1]
	v_mov_b32_e32 v32, v26
	v_mov_b32_e32 v33, v29
	s_mov_b32 s34, 0xbf7e222b
	v_pk_add_f32 v[98:99], v[34:35], v[36:37]
	v_pk_add_f32 v[100:101], v[36:37], v[34:35] neg_lo:[0,1] neg_hi:[0,1]
	v_pk_add_f32 v[34:35], v[32:33], v[30:31]
	s_mov_b32 s6, 0x3df6dbef
	v_pk_mul_f32 v[32:33], v[104:105], s[34:35] op_sel_hi:[1,0]
	s_mov_b32 s18, 0xbf6f5d39
	v_pk_fma_f32 v[30:31], v[102:103], s[6:7], v[32:33] op_sel:[0,0,1] op_sel_hi:[1,0,0]
	v_pk_fma_f32 v[32:33], v[102:103], s[6:7], v[32:33] op_sel:[0,0,1] op_sel_hi:[1,0,0] neg_lo:[0,0,1] neg_hi:[0,0,1]
	v_mov_b32_e32 v36, v30
	v_mov_b32_e32 v37, v33
	v_pk_add_f32 v[38:39], v[36:37], v[34:35]
	s_mov_b32 s16, 0xbeb58ec6
	v_pk_mul_f32 v[36:37], v[100:101], s[18:19] op_sel_hi:[1,0]
	v_pk_add_f32 v[90:91], v[42:43], v[40:41]
	v_pk_fma_f32 v[34:35], v[98:99], s[16:17], v[36:37] op_sel:[0,0,1] op_sel_hi:[1,0,0]
	v_pk_fma_f32 v[36:37], v[98:99], s[16:17], v[36:37] op_sel:[0,0,1] op_sel_hi:[1,0,0] neg_lo:[0,0,1] neg_hi:[0,0,1]
	v_pk_add_f32 v[92:93], v[40:41], v[42:43] neg_lo:[0,1] neg_hi:[0,1]
	v_mov_b32_e32 v40, v34
	v_mov_b32_e32 v41, v37
	s_mov_b32 s22, 0xbf29c268
	v_pk_add_f32 v[42:43], v[40:41], v[38:39]
	s_mov_b32 s20, 0xbf3f9e67
	v_pk_mul_f32 v[40:41], v[96:97], s[22:23] op_sel_hi:[1,0]
	v_pk_add_f32 v[66:67], v[46:47], v[66:67]
	v_pk_fma_f32 v[38:39], v[94:95], s[20:21], v[40:41] op_sel:[0,0,1] op_sel_hi:[1,0,0]
	v_pk_fma_f32 v[40:41], v[94:95], s[20:21], v[40:41] op_sel:[0,0,1] op_sel_hi:[1,0,0] neg_lo:[0,0,1] neg_hi:[0,0,1]
	v_mov_b32_e32 v46, v38
	v_mov_b32_e32 v47, v41
	s_mov_b32 s28, 0xbe750f2a
	v_pk_add_f32 v[68:69], v[46:47], v[42:43]
	s_mov_b32 s26, 0xbf788fa5
	v_pk_mul_f32 v[46:47], v[92:93], s[28:29] op_sel_hi:[1,0]
	v_pk_mul_f32 v[72:73], v[116:117], s[18:19] op_sel_hi:[1,0]
	v_pk_fma_f32 v[42:43], v[90:91], s[26:27], v[46:47] op_sel:[0,0,1] op_sel_hi:[1,0,0]
	v_pk_fma_f32 v[46:47], v[90:91], s[26:27], v[46:47] op_sel:[0,0,1] op_sel_hi:[1,0,0] neg_lo:[0,0,1] neg_hi:[0,0,1]
	v_mov_b32_e32 v70, v42
	v_mov_b32_e32 v71, v47
	v_pk_add_f32 v[68:69], v[70:71], v[68:69]
	ds_write2_b64 v111, v[66:67], v[68:69] offset1:1
	v_pk_mul_f32 v[68:69], v[114:115], s[24:25] op_sel_hi:[1,0]
	s_mov_b32 s38, 0x3f29c268
	v_pk_fma_f32 v[66:67], v[112:113], s[10:11], v[68:69] op_sel:[0,0,1] op_sel_hi:[1,0,0]
	v_pk_fma_f32 v[68:69], v[112:113], s[10:11], v[68:69] op_sel:[0,0,1] op_sel_hi:[1,0,0] neg_lo:[0,0,1] neg_hi:[0,0,1]
	v_mov_b32_e32 v70, v66
	v_mov_b32_e32 v71, v69
	v_pk_add_f32 v[74:75], v[24:25], v[70:71]
	v_pk_fma_f32 v[70:71], v[106:107], s[16:17], v[72:73] op_sel:[0,0,1] op_sel_hi:[1,0,0]
	v_pk_fma_f32 v[72:73], v[106:107], s[16:17], v[72:73] op_sel:[0,0,1] op_sel_hi:[1,0,0] neg_lo:[0,0,1] neg_hi:[0,0,1]
	v_mov_b32_e32 v76, v70
	v_mov_b32_e32 v77, v73
	v_pk_add_f32 v[78:79], v[76:77], v[74:75]
	v_pk_mul_f32 v[76:77], v[104:105], s[28:29] op_sel_hi:[1,0]
	s_mov_b32 s30, 0x3f7e222b
	v_pk_fma_f32 v[74:75], v[102:103], s[26:27], v[76:77] op_sel:[0,0,1] op_sel_hi:[1,0,0]
	v_pk_fma_f32 v[76:77], v[102:103], s[26:27], v[76:77] op_sel:[0,0,1] op_sel_hi:[1,0,0] neg_lo:[0,0,1] neg_hi:[0,0,1]
	v_mov_b32_e32 v80, v74
	v_mov_b32_e32 v81, v77
	v_pk_add_f32 v[82:83], v[80:81], v[78:79]
	v_pk_mul_f32 v[80:81], v[100:101], s[38:39] op_sel_hi:[1,0]
	s_mov_b32 s36, 0x3eedf032
	v_pk_fma_f32 v[78:79], v[98:99], s[20:21], v[80:81] op_sel:[0,0,1] op_sel_hi:[1,0,0]
	v_pk_fma_f32 v[80:81], v[98:99], s[20:21], v[80:81] op_sel:[0,0,1] op_sel_hi:[1,0,0] neg_lo:[0,0,1] neg_hi:[0,0,1]
	v_mov_b32_e32 v84, v78
	v_mov_b32_e32 v85, v81
	v_pk_add_f32 v[86:87], v[84:85], v[82:83]
	v_pk_mul_f32 v[84:85], v[96:97], s[30:31] op_sel_hi:[1,0]
	v_pk_mul_f32 v[126:127], v[116:117], s[28:29] op_sel_hi:[1,0]
	v_pk_fma_f32 v[82:83], v[94:95], s[6:7], v[84:85] op_sel:[0,0,1] op_sel_hi:[1,0,0]
	v_pk_fma_f32 v[84:85], v[94:95], s[6:7], v[84:85] op_sel:[0,0,1] op_sel_hi:[1,0,0] neg_lo:[0,0,1] neg_hi:[0,0,1]
	v_mov_b32_e32 v88, v82
	v_mov_b32_e32 v89, v85
	v_pk_add_f32 v[118:119], v[88:89], v[86:87]
	v_pk_mul_f32 v[88:89], v[92:93], s[36:37] op_sel_hi:[1,0]
	v_pk_fma_f32 v[128:129], v[106:107], s[26:27], v[126:127] op_sel:[0,0,1] op_sel_hi:[1,0,0]
	v_pk_fma_f32 v[86:87], v[90:91], s[14:15], v[88:89] op_sel:[0,0,1] op_sel_hi:[1,0,0]
	v_pk_fma_f32 v[88:89], v[90:91], s[14:15], v[88:89] op_sel:[0,0,1] op_sel_hi:[1,0,0] neg_lo:[0,0,1] neg_hi:[0,0,1]
	v_mov_b32_e32 v120, v86
	v_mov_b32_e32 v121, v89
	v_pk_add_f32 v[118:119], v[120:121], v[118:119]
	v_pk_mul_f32 v[120:121], v[114:115], s[34:35] op_sel_hi:[1,0]
	v_pk_fma_f32 v[126:127], v[106:107], s[26:27], v[126:127] op_sel:[0,0,1] op_sel_hi:[1,0,0] neg_lo:[0,0,1] neg_hi:[0,0,1]
	v_pk_fma_f32 v[122:123], v[112:113], s[6:7], v[120:121] op_sel:[0,0,1] op_sel_hi:[1,0,0]
	v_pk_fma_f32 v[120:121], v[112:113], s[6:7], v[120:121] op_sel:[0,0,1] op_sel_hi:[1,0,0] neg_lo:[0,0,1] neg_hi:[0,0,1]
	v_mov_b32_e32 v124, v122
	v_mov_b32_e32 v125, v121
	v_pk_add_f32 v[124:125], v[24:25], v[124:125]
	v_mov_b32_e32 v130, v128
	v_mov_b32_e32 v131, v127
	s_mov_b32 s40, 0x3f6f5d39
	v_pk_add_f32 v[124:125], v[130:131], v[124:125]
	v_pk_mul_f32 v[130:131], v[104:105], s[40:41] op_sel_hi:[1,0]
	v_pk_mul_f32 v[148:149], v[116:117], s[38:39] op_sel_hi:[1,0]
	v_pk_fma_f32 v[132:133], v[102:103], s[16:17], v[130:131] op_sel:[0,0,1] op_sel_hi:[1,0,0]
	v_pk_fma_f32 v[130:131], v[102:103], s[16:17], v[130:131] op_sel:[0,0,1] op_sel_hi:[1,0,0] neg_lo:[0,0,1] neg_hi:[0,0,1]
	v_mov_b32_e32 v134, v132
	v_mov_b32_e32 v135, v131
	v_pk_add_f32 v[124:125], v[134:135], v[124:125]
	v_pk_mul_f32 v[134:135], v[100:101], s[36:37] op_sel_hi:[1,0]
	v_pk_fma_f32 v[150:151], v[106:107], s[20:21], v[148:149] op_sel:[0,0,1] op_sel_hi:[1,0,0]
	v_pk_fma_f32 v[136:137], v[98:99], s[14:15], v[134:135] op_sel:[0,0,1] op_sel_hi:[1,0,0]
	v_pk_fma_f32 v[134:135], v[98:99], s[14:15], v[134:135] op_sel:[0,0,1] op_sel_hi:[1,0,0] neg_lo:[0,0,1] neg_hi:[0,0,1]
	v_mov_b32_e32 v138, v136
	v_mov_b32_e32 v139, v135
	v_pk_add_f32 v[124:125], v[138:139], v[124:125]
	v_pk_mul_f32 v[138:139], v[96:97], s[24:25] op_sel_hi:[1,0]
	v_pk_fma_f32 v[148:149], v[106:107], s[20:21], v[148:149] op_sel:[0,0,1] op_sel_hi:[1,0,0] neg_lo:[0,0,1] neg_hi:[0,0,1]
	v_pk_fma_f32 v[140:141], v[94:95], s[10:11], v[138:139] op_sel:[0,0,1] op_sel_hi:[1,0,0]
	v_pk_fma_f32 v[138:139], v[94:95], s[10:11], v[138:139] op_sel:[0,0,1] op_sel_hi:[1,0,0] neg_lo:[0,0,1] neg_hi:[0,0,1]
	v_mov_b32_e32 v142, v140
	v_mov_b32_e32 v143, v139
	v_pk_add_f32 v[124:125], v[142:143], v[124:125]
	v_pk_mul_f32 v[142:143], v[92:93], s[22:23] op_sel_hi:[1,0]
	v_mov_b32_e32 v152, v150
	v_pk_fma_f32 v[144:145], v[90:91], s[20:21], v[142:143] op_sel:[0,0,1] op_sel_hi:[1,0,0]
	v_pk_fma_f32 v[142:143], v[90:91], s[20:21], v[142:143] op_sel:[0,0,1] op_sel_hi:[1,0,0] neg_lo:[0,0,1] neg_hi:[0,0,1]
	v_mov_b32_e32 v146, v144
	v_mov_b32_e32 v147, v143
	v_pk_add_f32 v[124:125], v[146:147], v[124:125]
	ds_write2_b64 v111, v[118:119], v[124:125] offset0:2 offset1:3
	v_pk_mul_f32 v[118:119], v[114:115], s[18:19] op_sel_hi:[1,0]
	v_mov_b32_e32 v153, v149
	v_pk_fma_f32 v[124:125], v[112:113], s[16:17], v[118:119] op_sel:[0,0,1] op_sel_hi:[1,0,0]
	v_pk_fma_f32 v[118:119], v[112:113], s[16:17], v[118:119] op_sel:[0,0,1] op_sel_hi:[1,0,0] neg_lo:[0,0,1] neg_hi:[0,0,1]
	v_mov_b32_e32 v146, v124
	v_mov_b32_e32 v147, v119
	v_pk_add_f32 v[146:147], v[24:25], v[146:147]
	s_mov_b32 s38, 0x3f52af12
	v_pk_add_f32 v[146:147], v[152:153], v[146:147]
	v_pk_mul_f32 v[152:153], v[104:105], s[36:37] op_sel_hi:[1,0]
	v_pk_mul_f32 v[174:175], v[116:117], s[30:31] op_sel_hi:[1,0]
	v_pk_fma_f32 v[154:155], v[102:103], s[14:15], v[152:153] op_sel:[0,0,1] op_sel_hi:[1,0,0]
	v_pk_fma_f32 v[152:153], v[102:103], s[14:15], v[152:153] op_sel:[0,0,1] op_sel_hi:[1,0,0] neg_lo:[0,0,1] neg_hi:[0,0,1]
	v_mov_b32_e32 v156, v154
	v_mov_b32_e32 v157, v153
	v_pk_add_f32 v[146:147], v[156:157], v[146:147]
	v_pk_mul_f32 v[156:157], v[100:101], s[34:35] op_sel_hi:[1,0]
	s_mov_b32 s34, 0x3e750f2a
	v_pk_fma_f32 v[158:159], v[98:99], s[6:7], v[156:157] op_sel:[0,0,1] op_sel_hi:[1,0,0]
	v_pk_fma_f32 v[156:157], v[98:99], s[6:7], v[156:157] op_sel:[0,0,1] op_sel_hi:[1,0,0] neg_lo:[0,0,1] neg_hi:[0,0,1]
	v_mov_b32_e32 v160, v158
	v_mov_b32_e32 v161, v157
	v_pk_add_f32 v[146:147], v[160:161], v[146:147]
	v_pk_mul_f32 v[160:161], v[96:97], s[34:35] op_sel_hi:[1,0]
	v_pk_fma_f32 v[176:177], v[106:107], s[6:7], v[174:175] op_sel:[0,0,1] op_sel_hi:[1,0,0]
	v_pk_fma_f32 v[162:163], v[94:95], s[26:27], v[160:161] op_sel:[0,0,1] op_sel_hi:[1,0,0]
	v_pk_fma_f32 v[160:161], v[94:95], s[26:27], v[160:161] op_sel:[0,0,1] op_sel_hi:[1,0,0] neg_lo:[0,0,1] neg_hi:[0,0,1]
	v_mov_b32_e32 v164, v162
	v_mov_b32_e32 v165, v161
	v_pk_add_f32 v[146:147], v[164:165], v[146:147]
	v_pk_mul_f32 v[164:165], v[92:93], s[38:39] op_sel_hi:[1,0]
	v_pk_fma_f32 v[174:175], v[106:107], s[6:7], v[174:175] op_sel:[0,0,1] op_sel_hi:[1,0,0] neg_lo:[0,0,1] neg_hi:[0,0,1]
	v_pk_fma_f32 v[166:167], v[90:91], s[10:11], v[164:165] op_sel:[0,0,1] op_sel_hi:[1,0,0]
	v_pk_fma_f32 v[164:165], v[90:91], s[10:11], v[164:165] op_sel:[0,0,1] op_sel_hi:[1,0,0] neg_lo:[0,0,1] neg_hi:[0,0,1]
	v_mov_b32_e32 v168, v166
	v_mov_b32_e32 v169, v165
	v_pk_add_f32 v[146:147], v[168:169], v[146:147]
	v_pk_mul_f32 v[168:169], v[114:115], s[22:23] op_sel_hi:[1,0]
	v_mov_b32_e32 v178, v176
	v_pk_fma_f32 v[170:171], v[112:113], s[20:21], v[168:169] op_sel:[0,0,1] op_sel_hi:[1,0,0]
	v_pk_fma_f32 v[168:169], v[112:113], s[20:21], v[168:169] op_sel:[0,0,1] op_sel_hi:[1,0,0] neg_lo:[0,0,1] neg_hi:[0,0,1]
	v_mov_b32_e32 v172, v170
	v_mov_b32_e32 v173, v169
	v_pk_add_f32 v[172:173], v[24:25], v[172:173]
	v_mov_b32_e32 v179, v175
	v_pk_add_f32 v[172:173], v[178:179], v[172:173]
	v_pk_mul_f32 v[178:179], v[104:105], s[24:25] op_sel_hi:[1,0]
	v_pk_mul_f32 v[114:115], v[114:115], s[28:29] op_sel_hi:[1,0]
	v_pk_fma_f32 v[180:181], v[102:103], s[10:11], v[178:179] op_sel:[0,0,1] op_sel_hi:[1,0,0]
	v_pk_fma_f32 v[178:179], v[102:103], s[10:11], v[178:179] op_sel:[0,0,1] op_sel_hi:[1,0,0] neg_lo:[0,0,1] neg_hi:[0,0,1]
	v_mov_b32_e32 v182, v180
	v_mov_b32_e32 v183, v179
	v_pk_add_f32 v[172:173], v[182:183], v[172:173]
	v_pk_mul_f32 v[182:183], v[100:101], s[34:35] op_sel_hi:[1,0]
	v_pk_mul_f32 v[104:105], v[104:105], s[22:23] op_sel_hi:[1,0]
	v_pk_fma_f32 v[184:185], v[98:99], s[26:27], v[182:183] op_sel:[0,0,1] op_sel_hi:[1,0,0]
	v_pk_fma_f32 v[182:183], v[98:99], s[26:27], v[182:183] op_sel:[0,0,1] op_sel_hi:[1,0,0] neg_lo:[0,0,1] neg_hi:[0,0,1]
	v_mov_b32_e32 v186, v184
	v_mov_b32_e32 v187, v183
	v_pk_add_f32 v[172:173], v[186:187], v[172:173]
	v_pk_mul_f32 v[186:187], v[96:97], s[36:37] op_sel_hi:[1,0]
	v_pk_mul_f32 v[100:101], v[100:101], s[38:39] op_sel_hi:[1,0]
	v_pk_fma_f32 v[188:189], v[94:95], s[14:15], v[186:187] op_sel:[0,0,1] op_sel_hi:[1,0,0]
	v_pk_fma_f32 v[186:187], v[94:95], s[14:15], v[186:187] op_sel:[0,0,1] op_sel_hi:[1,0,0] neg_lo:[0,0,1] neg_hi:[0,0,1]
	v_mov_b32_e32 v190, v188
	v_mov_b32_e32 v191, v187
	v_pk_add_f32 v[172:173], v[190:191], v[172:173]
	v_pk_mul_f32 v[190:191], v[92:93], s[18:19] op_sel_hi:[1,0]
	v_pk_mul_f32 v[96:97], v[96:97], s[18:19] op_sel_hi:[1,0]
	v_pk_fma_f32 v[192:193], v[90:91], s[16:17], v[190:191] op_sel:[0,0,1] op_sel_hi:[1,0,0]
	v_pk_fma_f32 v[190:191], v[90:91], s[16:17], v[190:191] op_sel:[0,0,1] op_sel_hi:[1,0,0] neg_lo:[0,0,1] neg_hi:[0,0,1]
	v_mov_b32_e32 v194, v192
	v_mov_b32_e32 v195, v191
	v_pk_add_f32 v[172:173], v[194:195], v[172:173]
	ds_write2_b64 v111, v[146:147], v[172:173] offset0:4 offset1:5
	v_pk_fma_f32 v[146:147], v[112:113], s[26:27], v[114:115] op_sel:[0,0,1] op_sel_hi:[1,0,0]
	v_pk_fma_f32 v[112:113], v[112:113], s[26:27], v[114:115] op_sel:[0,0,1] op_sel_hi:[1,0,0] neg_lo:[0,0,1] neg_hi:[0,0,1]
	v_pk_mul_f32 v[114:115], v[116:117], s[36:37] op_sel_hi:[1,0]
	v_pk_mul_f32 v[92:93], v[92:93], s[30:31] op_sel_hi:[1,0]
	v_pk_fma_f32 v[116:117], v[106:107], s[14:15], v[114:115] op_sel:[0,0,1] op_sel_hi:[1,0,0]
	v_pk_fma_f32 v[106:107], v[106:107], s[14:15], v[114:115] op_sel:[0,0,1] op_sel_hi:[1,0,0] neg_lo:[0,0,1] neg_hi:[0,0,1]
	v_mov_b32_e32 v114, v146
	v_mov_b32_e32 v115, v113
	v_pk_add_f32 v[114:115], v[24:25], v[114:115]
	v_mov_b32_e32 v172, v116
	v_mov_b32_e32 v173, v107
	v_pk_add_f32 v[114:115], v[172:173], v[114:115]
	v_pk_fma_f32 v[172:173], v[102:103], s[20:21], v[104:105] op_sel:[0,0,1] op_sel_hi:[1,0,0]
	v_pk_fma_f32 v[102:103], v[102:103], s[20:21], v[104:105] op_sel:[0,0,1] op_sel_hi:[1,0,0] neg_lo:[0,0,1] neg_hi:[0,0,1]
	v_mov_b32_e32 v104, v172
	v_mov_b32_e32 v105, v103
	v_pk_add_f32 v[104:105], v[104:105], v[114:115]
	v_pk_fma_f32 v[114:115], v[98:99], s[10:11], v[100:101] op_sel:[0,0,1] op_sel_hi:[1,0,0]
	v_pk_fma_f32 v[98:99], v[98:99], s[10:11], v[100:101] op_sel:[0,0,1] op_sel_hi:[1,0,0] neg_lo:[0,0,1] neg_hi:[0,0,1]
	;; [unrolled: 5-line block ×4, first 2 shown]
	v_mov_b32_e32 v92, v100
	v_mov_b32_e32 v93, v91
	;; [unrolled: 1-line block ×3, first 2 shown]
	v_pk_add_f32 v[92:93], v[92:93], v[96:97]
	v_mov_b32_e32 v107, v117
	v_pk_add_f32 v[96:97], v[24:25], v[112:113]
	v_mov_b32_e32 v103, v173
	;; [unrolled: 2-line block ×7, first 2 shown]
	ds_write2_b64 v111, v[92:93], v[90:91] offset0:6 offset1:7
	v_mov_b32_e32 v175, v177
	v_pk_add_f32 v[90:91], v[24:25], v[168:169]
	v_pk_add_f32 v[92:93], v[24:25], v[118:119]
	v_mov_b32_e32 v149, v151
	v_pk_add_f32 v[90:91], v[174:175], v[90:91]
	v_mov_b32_e32 v179, v181
	;; [unrolled: 2-line block ×9, first 2 shown]
	v_pk_add_f32 v[90:91], v[190:191], v[90:91]
	v_pk_add_f32 v[92:93], v[164:165], v[92:93]
	v_mov_b32_e32 v121, v123
	v_mov_b32_e32 v69, v67
	;; [unrolled: 1-line block ×3, first 2 shown]
	ds_write2_b64 v111, v[90:91], v[92:93] offset0:8 offset1:9
	v_pk_add_f32 v[90:91], v[24:25], v[120:121]
	v_mov_b32_e32 v127, v129
	v_pk_add_f32 v[66:67], v[24:25], v[68:69]
	v_mov_b32_e32 v73, v71
	;; [unrolled: 2-line block ×15, first 2 shown]
	v_pk_add_f32 v[90:91], v[142:143], v[90:91]
	v_pk_add_f32 v[66:67], v[88:89], v[66:67]
	v_pk_add_f32 v[16:17], v[46:47], v[16:17]
	ds_write2_b64 v111, v[90:91], v[66:67] offset0:10 offset1:11
	ds_write_b64 v111, v[16:17] offset:96
.LBB0_13:
	s_or_b64 exec, exec, s[4:5]
	s_waitcnt lgkmcnt(0)
	s_barrier
	ds_read2_b64 v[24:27], v110 offset0:26 offset1:39
	ds_read2_b64 v[16:19], v110 offset1:13
	ds_read2_b64 v[28:31], v110 offset0:52 offset1:65
	ds_read2_b64 v[32:35], v110 offset0:78 offset1:91
	;; [unrolled: 1-line block ×3, first 2 shown]
	ds_read_b64 v[40:41], v110 offset:1040
	s_waitcnt lgkmcnt(5)
	v_pk_mul_f32 v[2:3], v[2:3], v[24:25]
	s_waitcnt lgkmcnt(4)
	v_pk_mul_f32 v[0:1], v[0:1], v[18:19]
	v_pk_fma_f32 v[42:43], v[64:65], v[24:25], v[2:3] op_sel:[0,0,1] op_sel_hi:[1,1,0]
	v_pk_fma_f32 v[2:3], v[64:65], v[24:25], v[2:3] op_sel:[0,0,1] op_sel_hi:[1,1,0] neg_lo:[0,0,1] neg_hi:[0,0,1]
	s_mov_b32 s16, 0xbf0a6770
	v_mov_b32_e32 v43, v3
	v_pk_mul_f32 v[2:3], v[12:13], v[26:27]
	s_mov_b32 s4, 0x3f575c64
	v_pk_fma_f32 v[12:13], v[62:63], v[26:27], v[2:3] op_sel:[0,0,1] op_sel_hi:[1,1,0]
	v_pk_fma_f32 v[2:3], v[62:63], v[26:27], v[2:3] op_sel:[0,0,1] op_sel_hi:[1,1,0] neg_lo:[0,0,1] neg_hi:[0,0,1]
	s_mov_b32 s26, 0xbf68dda4
	v_mov_b32_e32 v13, v3
	s_waitcnt lgkmcnt(3)
	v_pk_mul_f32 v[2:3], v[14:15], v[28:29]
	s_mov_b32 s6, 0x3ed4b147
	v_pk_fma_f32 v[14:15], v[56:57], v[28:29], v[2:3] op_sel:[0,0,1] op_sel_hi:[1,1,0]
	v_pk_fma_f32 v[2:3], v[56:57], v[28:29], v[2:3] op_sel:[0,0,1] op_sel_hi:[1,1,0] neg_lo:[0,0,1] neg_hi:[0,0,1]
	s_mov_b32 s14, 0xbf7d64f0
	v_mov_b32_e32 v15, v3
	v_pk_mul_f32 v[2:3], v[8:9], v[30:31]
	s_mov_b32 s10, 0xbe11bafb
	v_pk_fma_f32 v[8:9], v[54:55], v[30:31], v[2:3] op_sel:[0,0,1] op_sel_hi:[1,1,0]
	v_pk_fma_f32 v[2:3], v[54:55], v[30:31], v[2:3] op_sel:[0,0,1] op_sel_hi:[1,1,0] neg_lo:[0,0,1] neg_hi:[0,0,1]
	s_mov_b32 s20, 0xbf4178ce
	v_mov_b32_e32 v9, v3
	s_waitcnt lgkmcnt(2)
	v_pk_mul_f32 v[2:3], v[10:11], v[32:33]
	s_mov_b32 s18, 0xbf27a4f4
	v_pk_fma_f32 v[10:11], v[52:53], v[32:33], v[2:3] op_sel:[0,0,1] op_sel_hi:[1,1,0]
	v_pk_fma_f32 v[2:3], v[52:53], v[32:33], v[2:3] op_sel:[0,0,1] op_sel_hi:[1,1,0] neg_lo:[0,0,1] neg_hi:[0,0,1]
	s_mov_b32 s24, 0xbe903f40
	v_mov_b32_e32 v11, v3
	v_pk_mul_f32 v[2:3], v[4:5], v[34:35]
	s_mov_b32 s22, 0xbf75a155
	v_pk_fma_f32 v[4:5], v[50:51], v[34:35], v[2:3] op_sel:[0,0,1] op_sel_hi:[1,1,0]
	v_pk_fma_f32 v[2:3], v[50:51], v[34:35], v[2:3] op_sel:[0,0,1] op_sel_hi:[1,1,0] neg_lo:[0,0,1] neg_hi:[0,0,1]
	s_mov_b32 s28, 0x3f7d64f0
	v_mov_b32_e32 v5, v3
	s_waitcnt lgkmcnt(1)
	v_pk_mul_f32 v[2:3], v[6:7], v[36:37] op_sel:[1,0]
	s_mov_b32 s30, 0x3f0a6770
	v_pk_fma_f32 v[24:25], v[6:7], v[36:37], v[2:3] op_sel:[0,0,1] op_sel_hi:[1,1,0]
	v_pk_fma_f32 v[2:3], v[6:7], v[36:37], v[2:3] op_sel:[0,0,1] op_sel_hi:[0,1,0] neg_lo:[0,0,1] neg_hi:[0,0,1]
	v_mov_b32_e32 v25, v3
	v_pk_mul_f32 v[2:3], v[20:21], v[38:39]
	s_nop 0
	v_pk_fma_f32 v[6:7], v[60:61], v[38:39], v[2:3] op_sel:[0,0,1] op_sel_hi:[1,1,0]
	v_pk_fma_f32 v[2:3], v[60:61], v[38:39], v[2:3] op_sel:[0,0,1] op_sel_hi:[1,1,0] neg_lo:[0,0,1] neg_hi:[0,0,1]
	s_nop 0
	v_mov_b32_e32 v7, v3
	s_waitcnt lgkmcnt(0)
	v_pk_mul_f32 v[2:3], v[22:23], v[40:41]
	v_pk_add_f32 v[28:29], v[42:43], v[6:7]
	v_pk_fma_f32 v[20:21], v[58:59], v[40:41], v[2:3] op_sel:[0,0,1] op_sel_hi:[1,1,0]
	v_pk_fma_f32 v[2:3], v[58:59], v[40:41], v[2:3] op_sel:[0,0,1] op_sel_hi:[1,1,0] neg_lo:[0,0,1] neg_hi:[0,0,1]
	s_nop 0
	v_mov_b32_e32 v21, v3
	v_pk_fma_f32 v[2:3], v[48:49], v[18:19], v[0:1] op_sel:[0,0,1] op_sel_hi:[1,1,0]
	v_pk_fma_f32 v[0:1], v[48:49], v[18:19], v[0:1] op_sel:[0,0,1] op_sel_hi:[1,1,0] neg_lo:[0,0,1] neg_hi:[0,0,1]
	s_nop 0
	v_mov_b32_e32 v3, v1
	v_pk_add_f32 v[0:1], v[16:17], v[2:3]
	v_pk_add_f32 v[18:19], v[2:3], v[20:21]
	v_pk_add_f32 v[0:1], v[0:1], v[42:43]
	v_pk_add_f32 v[2:3], v[2:3], v[20:21] neg_lo:[0,1] neg_hi:[0,1]
	v_pk_add_f32 v[0:1], v[0:1], v[12:13]
	s_nop 0
	v_pk_add_f32 v[0:1], v[0:1], v[14:15]
	s_nop 0
	;; [unrolled: 2-line block ×6, first 2 shown]
	v_pk_add_f32 v[0:1], v[0:1], v[6:7]
	v_pk_add_f32 v[6:7], v[42:43], v[6:7] neg_lo:[0,1] neg_hi:[0,1]
	v_pk_add_f32 v[0:1], v[0:1], v[20:21]
	v_pk_mul_f32 v[20:21], v[2:3], s[16:17] op_sel_hi:[1,0]
	v_pk_mul_f32 v[30:31], v[6:7], s[26:27] op_sel_hi:[1,0]
	v_pk_fma_f32 v[22:23], v[18:19], s[4:5], v[20:21] op_sel:[0,0,1] op_sel_hi:[1,0,0]
	v_pk_fma_f32 v[20:21], v[18:19], s[4:5], v[20:21] op_sel:[0,0,1] op_sel_hi:[1,0,0] neg_lo:[0,0,1] neg_hi:[0,0,1]
	v_mov_b32_e32 v26, v22
	v_mov_b32_e32 v27, v21
	v_pk_fma_f32 v[32:33], v[28:29], s[6:7], v[30:31] op_sel:[0,0,1] op_sel_hi:[1,0,0]
	v_pk_fma_f32 v[30:31], v[28:29], s[6:7], v[30:31] op_sel:[0,0,1] op_sel_hi:[1,0,0] neg_lo:[0,0,1] neg_hi:[0,0,1]
	v_pk_add_f32 v[26:27], v[16:17], v[26:27]
	v_mov_b32_e32 v34, v32
	v_mov_b32_e32 v35, v31
	v_pk_add_f32 v[26:27], v[34:35], v[26:27]
	v_pk_add_f32 v[34:35], v[12:13], v[24:25]
	v_pk_add_f32 v[12:13], v[12:13], v[24:25] neg_lo:[0,1] neg_hi:[0,1]
	v_pk_mul_f32 v[50:51], v[6:7], s[20:21] op_sel_hi:[1,0]
	v_pk_mul_f32 v[24:25], v[12:13], s[14:15] op_sel_hi:[1,0]
	v_pk_fma_f32 v[52:53], v[28:29], s[18:19], v[50:51] op_sel:[0,0,1] op_sel_hi:[1,0,0]
	v_pk_fma_f32 v[36:37], v[34:35], s[10:11], v[24:25] op_sel:[0,0,1] op_sel_hi:[1,0,0]
	v_pk_fma_f32 v[24:25], v[34:35], s[10:11], v[24:25] op_sel:[0,0,1] op_sel_hi:[1,0,0] neg_lo:[0,0,1] neg_hi:[0,0,1]
	v_mov_b32_e32 v38, v36
	v_mov_b32_e32 v39, v25
	v_pk_add_f32 v[26:27], v[38:39], v[26:27]
	v_pk_add_f32 v[38:39], v[14:15], v[4:5]
	v_pk_add_f32 v[4:5], v[14:15], v[4:5] neg_lo:[0,1] neg_hi:[0,1]
	v_pk_fma_f32 v[50:51], v[28:29], s[18:19], v[50:51] op_sel:[0,0,1] op_sel_hi:[1,0,0] neg_lo:[0,0,1] neg_hi:[0,0,1]
	v_pk_mul_f32 v[14:15], v[4:5], s[20:21] op_sel_hi:[1,0]
	v_mov_b32_e32 v54, v52
	v_pk_fma_f32 v[40:41], v[38:39], s[18:19], v[14:15] op_sel:[0,0,1] op_sel_hi:[1,0,0]
	v_pk_fma_f32 v[14:15], v[38:39], s[18:19], v[14:15] op_sel:[0,0,1] op_sel_hi:[1,0,0] neg_lo:[0,0,1] neg_hi:[0,0,1]
	v_mov_b32_e32 v42, v40
	v_mov_b32_e32 v43, v15
	v_pk_add_f32 v[26:27], v[42:43], v[26:27]
	v_pk_add_f32 v[42:43], v[8:9], v[10:11]
	v_pk_add_f32 v[8:9], v[8:9], v[10:11] neg_lo:[0,1] neg_hi:[0,1]
	v_mov_b32_e32 v55, v51
	v_pk_mul_f32 v[10:11], v[8:9], s[24:25] op_sel_hi:[1,0]
	v_pk_mul_f32 v[90:91], v[6:7], s[28:29] op_sel_hi:[1,0]
	v_pk_fma_f32 v[46:47], v[42:43], s[22:23], v[10:11] op_sel:[0,0,1] op_sel_hi:[1,0,0]
	v_pk_fma_f32 v[10:11], v[42:43], s[22:23], v[10:11] op_sel:[0,0,1] op_sel_hi:[1,0,0] neg_lo:[0,0,1] neg_hi:[0,0,1]
	v_mov_b32_e32 v48, v46
	v_mov_b32_e32 v49, v11
	v_pk_add_f32 v[26:27], v[48:49], v[26:27]
	ds_write2_b64 v109, v[0:1], v[26:27] offset1:13
	v_pk_mul_f32 v[0:1], v[2:3], s[26:27] op_sel_hi:[1,0]
	s_mov_b32 s26, 0x3e903f40
	v_pk_fma_f32 v[26:27], v[18:19], s[6:7], v[0:1] op_sel:[0,0,1] op_sel_hi:[1,0,0]
	v_pk_fma_f32 v[0:1], v[18:19], s[6:7], v[0:1] op_sel:[0,0,1] op_sel_hi:[1,0,0] neg_lo:[0,0,1] neg_hi:[0,0,1]
	v_mov_b32_e32 v48, v26
	v_mov_b32_e32 v49, v1
	v_pk_add_f32 v[48:49], v[16:17], v[48:49]
	v_pk_mul_f32 v[72:73], v[6:7], s[26:27] op_sel_hi:[1,0]
	v_pk_add_f32 v[48:49], v[54:55], v[48:49]
	v_pk_mul_f32 v[54:55], v[12:13], s[26:27] op_sel_hi:[1,0]
	v_pk_fma_f32 v[74:75], v[28:29], s[22:23], v[72:73] op_sel:[0,0,1] op_sel_hi:[1,0,0]
	v_pk_fma_f32 v[56:57], v[34:35], s[22:23], v[54:55] op_sel:[0,0,1] op_sel_hi:[1,0,0]
	v_pk_fma_f32 v[54:55], v[34:35], s[22:23], v[54:55] op_sel:[0,0,1] op_sel_hi:[1,0,0] neg_lo:[0,0,1] neg_hi:[0,0,1]
	v_mov_b32_e32 v58, v56
	v_mov_b32_e32 v59, v55
	v_pk_add_f32 v[48:49], v[58:59], v[48:49]
	v_pk_mul_f32 v[58:59], v[4:5], s[28:29] op_sel_hi:[1,0]
	v_pk_fma_f32 v[72:73], v[28:29], s[22:23], v[72:73] op_sel:[0,0,1] op_sel_hi:[1,0,0] neg_lo:[0,0,1] neg_hi:[0,0,1]
	v_pk_fma_f32 v[60:61], v[38:39], s[10:11], v[58:59] op_sel:[0,0,1] op_sel_hi:[1,0,0]
	v_pk_fma_f32 v[58:59], v[38:39], s[10:11], v[58:59] op_sel:[0,0,1] op_sel_hi:[1,0,0] neg_lo:[0,0,1] neg_hi:[0,0,1]
	v_mov_b32_e32 v62, v60
	v_mov_b32_e32 v63, v59
	v_pk_add_f32 v[48:49], v[62:63], v[48:49]
	v_pk_mul_f32 v[62:63], v[8:9], s[30:31] op_sel_hi:[1,0]
	v_mov_b32_e32 v76, v74
	v_pk_fma_f32 v[64:65], v[42:43], s[4:5], v[62:63] op_sel:[0,0,1] op_sel_hi:[1,0,0]
	v_pk_fma_f32 v[62:63], v[42:43], s[4:5], v[62:63] op_sel:[0,0,1] op_sel_hi:[1,0,0] neg_lo:[0,0,1] neg_hi:[0,0,1]
	v_mov_b32_e32 v66, v64
	v_mov_b32_e32 v67, v63
	v_pk_add_f32 v[48:49], v[66:67], v[48:49]
	v_pk_mul_f32 v[66:67], v[2:3], s[14:15] op_sel_hi:[1,0]
	v_mov_b32_e32 v77, v73
	v_pk_fma_f32 v[68:69], v[18:19], s[10:11], v[66:67] op_sel:[0,0,1] op_sel_hi:[1,0,0]
	v_pk_fma_f32 v[66:67], v[18:19], s[10:11], v[66:67] op_sel:[0,0,1] op_sel_hi:[1,0,0] neg_lo:[0,0,1] neg_hi:[0,0,1]
	v_mov_b32_e32 v70, v68
	v_mov_b32_e32 v71, v67
	v_pk_add_f32 v[70:71], v[16:17], v[70:71]
	s_mov_b32 s26, 0x3f68dda4
	v_pk_add_f32 v[70:71], v[76:77], v[70:71]
	v_pk_mul_f32 v[76:77], v[12:13], s[26:27] op_sel_hi:[1,0]
	v_pk_fma_f32 v[92:93], v[28:29], s[10:11], v[90:91] op_sel:[0,0,1] op_sel_hi:[1,0,0]
	v_pk_fma_f32 v[78:79], v[34:35], s[6:7], v[76:77] op_sel:[0,0,1] op_sel_hi:[1,0,0]
	v_pk_fma_f32 v[76:77], v[34:35], s[6:7], v[76:77] op_sel:[0,0,1] op_sel_hi:[1,0,0] neg_lo:[0,0,1] neg_hi:[0,0,1]
	v_mov_b32_e32 v80, v78
	v_mov_b32_e32 v81, v77
	v_pk_add_f32 v[70:71], v[80:81], v[70:71]
	v_pk_mul_f32 v[80:81], v[4:5], s[16:17] op_sel_hi:[1,0]
	v_pk_fma_f32 v[90:91], v[28:29], s[10:11], v[90:91] op_sel:[0,0,1] op_sel_hi:[1,0,0] neg_lo:[0,0,1] neg_hi:[0,0,1]
	v_pk_fma_f32 v[82:83], v[38:39], s[4:5], v[80:81] op_sel:[0,0,1] op_sel_hi:[1,0,0]
	v_pk_fma_f32 v[80:81], v[38:39], s[4:5], v[80:81] op_sel:[0,0,1] op_sel_hi:[1,0,0] neg_lo:[0,0,1] neg_hi:[0,0,1]
	v_mov_b32_e32 v84, v82
	v_mov_b32_e32 v85, v81
	v_pk_add_f32 v[70:71], v[84:85], v[70:71]
	v_pk_mul_f32 v[84:85], v[8:9], s[20:21] op_sel_hi:[1,0]
	v_mov_b32_e32 v94, v92
	v_pk_fma_f32 v[86:87], v[42:43], s[18:19], v[84:85] op_sel:[0,0,1] op_sel_hi:[1,0,0]
	v_pk_fma_f32 v[84:85], v[42:43], s[18:19], v[84:85] op_sel:[0,0,1] op_sel_hi:[1,0,0] neg_lo:[0,0,1] neg_hi:[0,0,1]
	v_mov_b32_e32 v88, v86
	v_mov_b32_e32 v89, v85
	v_pk_add_f32 v[70:71], v[88:89], v[70:71]
	ds_write2_b64 v109, v[48:49], v[70:71] offset0:26 offset1:39
	v_pk_mul_f32 v[48:49], v[2:3], s[20:21] op_sel_hi:[1,0]
	v_mov_b32_e32 v95, v91
	v_pk_fma_f32 v[70:71], v[18:19], s[18:19], v[48:49] op_sel:[0,0,1] op_sel_hi:[1,0,0]
	v_pk_fma_f32 v[48:49], v[18:19], s[18:19], v[48:49] op_sel:[0,0,1] op_sel_hi:[1,0,0] neg_lo:[0,0,1] neg_hi:[0,0,1]
	v_mov_b32_e32 v88, v70
	v_mov_b32_e32 v89, v49
	v_pk_add_f32 v[88:89], v[16:17], v[88:89]
	v_pk_mul_f32 v[2:3], v[2:3], s[24:25] op_sel_hi:[1,0]
	v_pk_add_f32 v[88:89], v[94:95], v[88:89]
	v_pk_mul_f32 v[94:95], v[12:13], s[16:17] op_sel_hi:[1,0]
	v_pk_mul_f32 v[6:7], v[6:7], s[30:31] op_sel_hi:[1,0]
	v_pk_fma_f32 v[96:97], v[34:35], s[4:5], v[94:95] op_sel:[0,0,1] op_sel_hi:[1,0,0]
	v_pk_fma_f32 v[94:95], v[34:35], s[4:5], v[94:95] op_sel:[0,0,1] op_sel_hi:[1,0,0] neg_lo:[0,0,1] neg_hi:[0,0,1]
	v_mov_b32_e32 v98, v96
	v_mov_b32_e32 v99, v95
	v_pk_add_f32 v[88:89], v[98:99], v[88:89]
	v_pk_mul_f32 v[98:99], v[4:5], s[24:25] op_sel_hi:[1,0]
	v_pk_fma_f32 v[110:111], v[28:29], s[4:5], v[6:7] op_sel:[0,0,1] op_sel_hi:[1,0,0]
	v_pk_fma_f32 v[100:101], v[38:39], s[22:23], v[98:99] op_sel:[0,0,1] op_sel_hi:[1,0,0]
	v_pk_fma_f32 v[98:99], v[38:39], s[22:23], v[98:99] op_sel:[0,0,1] op_sel_hi:[1,0,0] neg_lo:[0,0,1] neg_hi:[0,0,1]
	v_mov_b32_e32 v102, v100
	v_mov_b32_e32 v103, v99
	v_pk_add_f32 v[88:89], v[102:103], v[88:89]
	v_pk_mul_f32 v[102:103], v[8:9], s[26:27] op_sel_hi:[1,0]
	v_pk_fma_f32 v[6:7], v[28:29], s[4:5], v[6:7] op_sel:[0,0,1] op_sel_hi:[1,0,0] neg_lo:[0,0,1] neg_hi:[0,0,1]
	v_pk_fma_f32 v[104:105], v[42:43], s[6:7], v[102:103] op_sel:[0,0,1] op_sel_hi:[1,0,0]
	v_pk_fma_f32 v[102:103], v[42:43], s[6:7], v[102:103] op_sel:[0,0,1] op_sel_hi:[1,0,0] neg_lo:[0,0,1] neg_hi:[0,0,1]
	v_mov_b32_e32 v106, v104
	v_mov_b32_e32 v107, v103
	v_pk_add_f32 v[88:89], v[106:107], v[88:89]
	v_pk_fma_f32 v[106:107], v[18:19], s[22:23], v[2:3] op_sel:[0,0,1] op_sel_hi:[1,0,0]
	v_pk_fma_f32 v[2:3], v[18:19], s[22:23], v[2:3] op_sel:[0,0,1] op_sel_hi:[1,0,0] neg_lo:[0,0,1] neg_hi:[0,0,1]
	v_mov_b32_e32 v18, v106
	v_mov_b32_e32 v19, v3
	v_pk_add_f32 v[18:19], v[16:17], v[18:19]
	v_mov_b32_e32 v28, v110
	v_mov_b32_e32 v29, v7
	v_pk_mul_f32 v[12:13], v[12:13], s[20:21] op_sel_hi:[1,0]
	v_pk_add_f32 v[18:19], v[28:29], v[18:19]
	v_pk_fma_f32 v[28:29], v[34:35], s[18:19], v[12:13] op_sel:[0,0,1] op_sel_hi:[1,0,0]
	v_pk_fma_f32 v[12:13], v[34:35], s[18:19], v[12:13] op_sel:[0,0,1] op_sel_hi:[1,0,0] neg_lo:[0,0,1] neg_hi:[0,0,1]
	v_mov_b32_e32 v3, v107
	v_mov_b32_e32 v34, v28
	;; [unrolled: 1-line block ×3, first 2 shown]
	v_pk_mul_f32 v[4:5], v[4:5], s[26:27] op_sel_hi:[1,0]
	v_pk_add_f32 v[2:3], v[16:17], v[2:3]
	v_mov_b32_e32 v7, v111
	v_pk_add_f32 v[18:19], v[34:35], v[18:19]
	v_pk_fma_f32 v[34:35], v[38:39], s[6:7], v[4:5] op_sel:[0,0,1] op_sel_hi:[1,0,0]
	v_pk_fma_f32 v[4:5], v[38:39], s[6:7], v[4:5] op_sel:[0,0,1] op_sel_hi:[1,0,0] neg_lo:[0,0,1] neg_hi:[0,0,1]
	v_pk_add_f32 v[2:3], v[6:7], v[2:3]
	v_mov_b32_e32 v13, v29
	v_mov_b32_e32 v39, v5
	v_pk_add_f32 v[2:3], v[12:13], v[2:3]
	v_mov_b32_e32 v5, v35
	v_mov_b32_e32 v49, v71
	v_pk_add_f32 v[2:3], v[4:5], v[2:3]
	v_pk_add_f32 v[4:5], v[16:17], v[48:49]
	v_mov_b32_e32 v91, v93
	v_mov_b32_e32 v38, v34
	v_pk_mul_f32 v[8:9], v[8:9], s[14:15] op_sel_hi:[1,0]
	v_pk_add_f32 v[4:5], v[90:91], v[4:5]
	v_mov_b32_e32 v95, v97
	v_pk_add_f32 v[18:19], v[38:39], v[18:19]
	v_pk_fma_f32 v[38:39], v[42:43], s[10:11], v[8:9] op_sel:[0,0,1] op_sel_hi:[1,0,0]
	v_pk_fma_f32 v[8:9], v[42:43], s[10:11], v[8:9] op_sel:[0,0,1] op_sel_hi:[1,0,0] neg_lo:[0,0,1] neg_hi:[0,0,1]
	v_pk_add_f32 v[4:5], v[94:95], v[4:5]
	v_mov_b32_e32 v99, v101
	v_mov_b32_e32 v43, v9
	;; [unrolled: 1-line block ×3, first 2 shown]
	v_pk_add_f32 v[4:5], v[98:99], v[4:5]
	v_mov_b32_e32 v103, v105
	v_pk_add_f32 v[2:3], v[8:9], v[2:3]
	v_pk_add_f32 v[4:5], v[102:103], v[4:5]
	v_mov_b32_e32 v67, v69
	v_mov_b32_e32 v1, v27
	ds_write2_b64 v109, v[2:3], v[4:5] offset0:78 offset1:91
	v_pk_add_f32 v[2:3], v[16:17], v[66:67]
	v_mov_b32_e32 v73, v75
	v_pk_add_f32 v[0:1], v[16:17], v[0:1]
	v_mov_b32_e32 v51, v53
	;; [unrolled: 2-line block ×8, first 2 shown]
	v_pk_add_f32 v[2:3], v[84:85], v[2:3]
	v_pk_add_f32 v[0:1], v[62:63], v[0:1]
	v_mov_b32_e32 v21, v23
	ds_write2_b64 v109, v[2:3], v[0:1] offset0:104 offset1:117
	v_pk_add_f32 v[0:1], v[16:17], v[20:21]
	v_mov_b32_e32 v31, v33
	v_pk_add_f32 v[0:1], v[30:31], v[0:1]
	v_mov_b32_e32 v25, v37
	v_pk_add_f32 v[0:1], v[24:25], v[0:1]
	v_mov_b32_e32 v15, v41
	v_mov_b32_e32 v42, v38
	v_pk_add_f32 v[0:1], v[14:15], v[0:1]
	v_mov_b32_e32 v11, v47
	v_pk_add_f32 v[18:19], v[42:43], v[18:19]
	v_pk_add_f32 v[0:1], v[10:11], v[0:1]
	ds_write2_b64 v109, v[88:89], v[18:19] offset0:52 offset1:65
	ds_write_b64 v109, v[0:1] offset:1040
	s_waitcnt lgkmcnt(0)
	s_barrier
	s_and_b64 exec, exec, vcc
	s_cbranch_execz .LBB0_15
; %bb.14:
	global_load_dwordx2 v[8:9], v45, s[8:9]
	global_load_dwordx2 v[10:11], v45, s[8:9] offset:88
	global_load_dwordx2 v[12:13], v45, s[8:9] offset:176
	;; [unrolled: 1-line block ×4, first 2 shown]
	ds_read_b64 v[22:23], v109
	ds_read2_b64 v[0:3], v109 offset0:11 offset1:22
	ds_read2_b64 v[4:7], v109 offset0:33 offset1:44
	global_load_dwordx2 v[26:27], v45, s[8:9] offset:440
	global_load_dwordx2 v[28:29], v45, s[8:9] offset:528
	;; [unrolled: 1-line block ×3, first 2 shown]
	v_mad_u64_u32 v[24:25], s[6:7], s0, v108, 0
	v_mov_b32_e32 v34, v25
	v_mad_u64_u32 v[34:35], s[6:7], s1, v108, v[34:35]
	v_mov_b32_e32 v25, v34
	;; [unrolled: 2-line block ×4, first 2 shown]
	v_mov_b32_e32 v17, s13
	v_mov_b32_e32 v21, v32
	v_lshl_add_u64 v[16:17], v[20:21], 3, v[16:17]
	v_mov_b32_e32 v36, 0x58
	v_lshl_add_u64 v[16:17], v[24:25], 3, v[16:17]
	s_mul_i32 s2, s1, 0x58
	v_mad_u64_u32 v[20:21], s[6:7], s0, v36, v[16:17]
	s_mov_b32 s4, 0x55ee191
	v_add_u32_e32 v21, s2, v21
	s_mov_b32 s5, 0x3f7ca4b3
	v_mad_u64_u32 v[24:25], s[6:7], s0, v36, v[20:21]
	v_add_u32_e32 v25, s2, v25
	v_mad_u64_u32 v[32:33], s[6:7], s0, v36, v[24:25]
	v_add_u32_e32 v33, s2, v33
	s_waitcnt vmcnt(7) lgkmcnt(2)
	v_mul_f32_e32 v34, v23, v9
	s_waitcnt vmcnt(6) lgkmcnt(1)
	v_mul_f32_e32 v35, v1, v11
	v_mul_f32_e32 v9, v22, v9
	;; [unrolled: 1-line block ×3, first 2 shown]
	s_waitcnt vmcnt(4) lgkmcnt(0)
	v_mul_f32_e32 v38, v5, v15
	v_mul_f32_e32 v15, v4, v15
	v_fmac_f32_e32 v34, v22, v8
	v_fmac_f32_e32 v35, v0, v10
	v_fma_f32 v8, v8, v23, -v9
	v_fma_f32 v9, v10, v1, -v11
	v_fmac_f32_e32 v38, v4, v14
	v_fma_f32 v22, v14, v5, -v15
	v_cvt_f64_f32_e32 v[0:1], v34
	v_cvt_f64_f32_e32 v[4:5], v35
	global_load_dwordx2 v[34:35], v45, s[8:9] offset:704
	v_mul_f32_e32 v37, v3, v13
	v_mul_f32_e32 v13, v2, v13
	v_fmac_f32_e32 v37, v2, v12
	v_fma_f32 v12, v12, v3, -v13
	v_cvt_f64_f32_e32 v[2:3], v8
	v_cvt_f64_f32_e32 v[8:9], v9
	;; [unrolled: 1-line block ×6, first 2 shown]
	v_mul_f64 v[0:1], v[0:1], s[4:5]
	v_mul_f64 v[2:3], v[2:3], s[4:5]
	;; [unrolled: 1-line block ×8, first 2 shown]
	v_cvt_f32_f64_e32 v0, v[0:1]
	v_cvt_f32_f64_e32 v1, v[2:3]
	;; [unrolled: 1-line block ×5, first 2 shown]
	global_load_dwordx2 v[10:11], v45, s[8:9] offset:792
	v_cvt_f32_f64_e32 v5, v[12:13]
	v_cvt_f32_f64_e32 v8, v[14:15]
	;; [unrolled: 1-line block ×3, first 2 shown]
	global_store_dwordx2 v[16:17], v[0:1], off
	global_store_dwordx2 v[20:21], v[2:3], off
	;; [unrolled: 1-line block ×4, first 2 shown]
	s_waitcnt vmcnt(9)
	v_mul_f32_e32 v0, v7, v19
	v_fmac_f32_e32 v0, v6, v18
	v_cvt_f64_f32_e32 v[0:1], v0
	v_mul_f64 v[0:1], v[0:1], s[4:5]
	v_cvt_f32_f64_e32 v4, v[0:1]
	v_mul_f32_e32 v0, v6, v19
	v_fma_f32 v0, v18, v7, -v0
	global_load_dwordx2 v[6:7], v45, s[8:9] offset:880
	global_load_dwordx2 v[12:13], v45, s[8:9] offset:968
	v_cvt_f64_f32_e32 v[0:1], v0
	v_mul_f64 v[0:1], v[0:1], s[4:5]
	v_cvt_f32_f64_e32 v5, v[0:1]
	ds_read2_b64 v[0:3], v109 offset0:55 offset1:66
	v_mad_u64_u32 v[8:9], s[6:7], s0, v36, v[32:33]
	v_add_u32_e32 v9, s2, v9
	global_store_dwordx2 v[8:9], v[4:5], off
	s_waitcnt vmcnt(11) lgkmcnt(0)
	v_mul_f32_e32 v4, v1, v27
	v_fmac_f32_e32 v4, v0, v26
	v_mul_f32_e32 v0, v0, v27
	v_fma_f32 v0, v26, v1, -v0
	v_cvt_f64_f32_e32 v[4:5], v4
	v_cvt_f64_f32_e32 v[0:1], v0
	v_mul_f64 v[4:5], v[4:5], s[4:5]
	v_mul_f64 v[0:1], v[0:1], s[4:5]
	v_cvt_f32_f64_e32 v4, v[4:5]
	v_cvt_f32_f64_e32 v5, v[0:1]
	s_waitcnt vmcnt(10)
	v_mul_f32_e32 v0, v3, v29
	v_fmac_f32_e32 v0, v2, v28
	v_mad_u64_u32 v[8:9], s[6:7], s0, v36, v[8:9]
	v_cvt_f64_f32_e32 v[0:1], v0
	v_add_u32_e32 v9, s2, v9
	v_mul_f64 v[0:1], v[0:1], s[4:5]
	global_store_dwordx2 v[8:9], v[4:5], off
	v_cvt_f32_f64_e32 v4, v[0:1]
	v_mul_f32_e32 v0, v2, v29
	v_fma_f32 v0, v28, v3, -v0
	v_cvt_f64_f32_e32 v[0:1], v0
	v_mul_f64 v[0:1], v[0:1], s[4:5]
	v_cvt_f32_f64_e32 v5, v[0:1]
	ds_read2_b64 v[0:3], v109 offset0:77 offset1:88
	v_mad_u64_u32 v[8:9], s[6:7], s0, v36, v[8:9]
	v_add_u32_e32 v9, s2, v9
	global_store_dwordx2 v[8:9], v[4:5], off
	s_waitcnt vmcnt(11) lgkmcnt(0)
	v_mul_f32_e32 v4, v1, v31
	v_fmac_f32_e32 v4, v0, v30
	v_mul_f32_e32 v0, v0, v31
	v_fma_f32 v0, v30, v1, -v0
	v_cvt_f64_f32_e32 v[4:5], v4
	v_cvt_f64_f32_e32 v[0:1], v0
	v_mul_f64 v[4:5], v[4:5], s[4:5]
	v_mul_f64 v[0:1], v[0:1], s[4:5]
	v_cvt_f32_f64_e32 v4, v[4:5]
	v_cvt_f32_f64_e32 v5, v[0:1]
	s_waitcnt vmcnt(10)
	v_mul_f32_e32 v0, v3, v35
	v_fmac_f32_e32 v0, v2, v34
	v_mad_u64_u32 v[8:9], s[6:7], s0, v36, v[8:9]
	v_cvt_f64_f32_e32 v[0:1], v0
	v_add_u32_e32 v9, s2, v9
	v_mul_f64 v[0:1], v[0:1], s[4:5]
	global_store_dwordx2 v[8:9], v[4:5], off
	v_cvt_f32_f64_e32 v4, v[0:1]
	v_mul_f32_e32 v0, v2, v35
	v_fma_f32 v0, v34, v3, -v0
	v_cvt_f64_f32_e32 v[0:1], v0
	v_mul_f64 v[0:1], v[0:1], s[4:5]
	v_cvt_f32_f64_e32 v5, v[0:1]
	ds_read2_b64 v[0:3], v109 offset0:99 offset1:110
	v_mad_u64_u32 v[8:9], s[6:7], s0, v36, v[8:9]
	v_add_u32_e32 v9, s2, v9
	global_store_dwordx2 v[8:9], v[4:5], off
	s_waitcnt vmcnt(11) lgkmcnt(0)
	v_mul_f32_e32 v4, v1, v11
	v_fmac_f32_e32 v4, v0, v10
	v_mul_f32_e32 v0, v0, v11
	v_fma_f32 v0, v10, v1, -v0
	v_cvt_f64_f32_e32 v[4:5], v4
	v_cvt_f64_f32_e32 v[0:1], v0
	v_mul_f64 v[4:5], v[4:5], s[4:5]
	v_mul_f64 v[0:1], v[0:1], s[4:5]
	v_cvt_f32_f64_e32 v4, v[4:5]
	v_cvt_f32_f64_e32 v5, v[0:1]
	v_mad_u64_u32 v[8:9], s[6:7], s0, v36, v[8:9]
	s_waitcnt vmcnt(6)
	v_mul_f32_e32 v0, v3, v7
	v_fmac_f32_e32 v0, v2, v6
	v_cvt_f64_f32_e32 v[0:1], v0
	v_add_u32_e32 v9, s2, v9
	v_mul_f64 v[0:1], v[0:1], s[4:5]
	global_store_dwordx2 v[8:9], v[4:5], off
	v_cvt_f32_f64_e32 v4, v[0:1]
	v_mul_f32_e32 v0, v2, v7
	v_fma_f32 v0, v6, v3, -v0
	v_cvt_f64_f32_e32 v[0:1], v0
	v_mul_f64 v[0:1], v[0:1], s[4:5]
	v_cvt_f32_f64_e32 v5, v[0:1]
	ds_read2_b64 v[0:3], v109 offset0:121 offset1:132
	v_mad_u64_u32 v[6:7], s[6:7], s0, v36, v[8:9]
	v_add_u32_e32 v7, s2, v7
	global_store_dwordx2 v[6:7], v[4:5], off
	s_waitcnt vmcnt(7) lgkmcnt(0)
	v_mul_f32_e32 v4, v1, v13
	v_fmac_f32_e32 v4, v0, v12
	v_mul_f32_e32 v0, v0, v13
	v_fma_f32 v0, v12, v1, -v0
	v_cvt_f64_f32_e32 v[4:5], v4
	v_cvt_f64_f32_e32 v[0:1], v0
	v_mul_f64 v[4:5], v[4:5], s[4:5]
	v_mul_f64 v[0:1], v[0:1], s[4:5]
	v_cvt_f32_f64_e32 v4, v[4:5]
	v_cvt_f32_f64_e32 v5, v[0:1]
	v_mad_u64_u32 v[0:1], s[6:7], s0, v36, v[6:7]
	v_add_u32_e32 v1, s2, v1
	global_store_dwordx2 v[0:1], v[4:5], off
	global_load_dwordx2 v[4:5], v45, s[8:9] offset:1056
	v_mad_u64_u32 v[0:1], s[0:1], s0, v36, v[0:1]
	v_add_u32_e32 v1, s2, v1
	s_waitcnt vmcnt(0)
	v_mul_f32_e32 v6, v3, v5
	v_fmac_f32_e32 v6, v2, v4
	v_mul_f32_e32 v2, v2, v5
	v_fma_f32 v2, v4, v3, -v2
	v_cvt_f64_f32_e32 v[6:7], v6
	v_cvt_f64_f32_e32 v[2:3], v2
	v_mul_f64 v[6:7], v[6:7], s[4:5]
	v_mul_f64 v[2:3], v[2:3], s[4:5]
	v_cvt_f32_f64_e32 v6, v[6:7]
	v_cvt_f32_f64_e32 v7, v[2:3]
	global_store_dwordx2 v[0:1], v[6:7], off
.LBB0_15:
	s_endpgm
	.section	.rodata,"a",@progbits
	.p2align	6, 0x0
	.amdhsa_kernel bluestein_single_fwd_len143_dim1_sp_op_CI_CI
		.amdhsa_group_segment_fixed_size 16016
		.amdhsa_private_segment_fixed_size 0
		.amdhsa_kernarg_size 104
		.amdhsa_user_sgpr_count 2
		.amdhsa_user_sgpr_dispatch_ptr 0
		.amdhsa_user_sgpr_queue_ptr 0
		.amdhsa_user_sgpr_kernarg_segment_ptr 1
		.amdhsa_user_sgpr_dispatch_id 0
		.amdhsa_user_sgpr_kernarg_preload_length 0
		.amdhsa_user_sgpr_kernarg_preload_offset 0
		.amdhsa_user_sgpr_private_segment_size 0
		.amdhsa_uses_dynamic_stack 0
		.amdhsa_enable_private_segment 0
		.amdhsa_system_sgpr_workgroup_id_x 1
		.amdhsa_system_sgpr_workgroup_id_y 0
		.amdhsa_system_sgpr_workgroup_id_z 0
		.amdhsa_system_sgpr_workgroup_info 0
		.amdhsa_system_vgpr_workitem_id 0
		.amdhsa_next_free_vgpr 196
		.amdhsa_next_free_sgpr 42
		.amdhsa_accum_offset 196
		.amdhsa_reserve_vcc 1
		.amdhsa_float_round_mode_32 0
		.amdhsa_float_round_mode_16_64 0
		.amdhsa_float_denorm_mode_32 3
		.amdhsa_float_denorm_mode_16_64 3
		.amdhsa_dx10_clamp 1
		.amdhsa_ieee_mode 1
		.amdhsa_fp16_overflow 0
		.amdhsa_tg_split 0
		.amdhsa_exception_fp_ieee_invalid_op 0
		.amdhsa_exception_fp_denorm_src 0
		.amdhsa_exception_fp_ieee_div_zero 0
		.amdhsa_exception_fp_ieee_overflow 0
		.amdhsa_exception_fp_ieee_underflow 0
		.amdhsa_exception_fp_ieee_inexact 0
		.amdhsa_exception_int_div_zero 0
	.end_amdhsa_kernel
	.text
.Lfunc_end0:
	.size	bluestein_single_fwd_len143_dim1_sp_op_CI_CI, .Lfunc_end0-bluestein_single_fwd_len143_dim1_sp_op_CI_CI
                                        ; -- End function
	.section	.AMDGPU.csdata,"",@progbits
; Kernel info:
; codeLenInByte = 11888
; NumSgprs: 48
; NumVgprs: 196
; NumAgprs: 0
; TotalNumVgprs: 196
; ScratchSize: 0
; MemoryBound: 0
; FloatMode: 240
; IeeeMode: 1
; LDSByteSize: 16016 bytes/workgroup (compile time only)
; SGPRBlocks: 5
; VGPRBlocks: 24
; NumSGPRsForWavesPerEU: 48
; NumVGPRsForWavesPerEU: 196
; AccumOffset: 196
; Occupancy: 2
; WaveLimiterHint : 1
; COMPUTE_PGM_RSRC2:SCRATCH_EN: 0
; COMPUTE_PGM_RSRC2:USER_SGPR: 2
; COMPUTE_PGM_RSRC2:TRAP_HANDLER: 0
; COMPUTE_PGM_RSRC2:TGID_X_EN: 1
; COMPUTE_PGM_RSRC2:TGID_Y_EN: 0
; COMPUTE_PGM_RSRC2:TGID_Z_EN: 0
; COMPUTE_PGM_RSRC2:TIDIG_COMP_CNT: 0
; COMPUTE_PGM_RSRC3_GFX90A:ACCUM_OFFSET: 48
; COMPUTE_PGM_RSRC3_GFX90A:TG_SPLIT: 0
	.text
	.p2alignl 6, 3212836864
	.fill 256, 4, 3212836864
	.type	__hip_cuid_c7c0b30637fae44a,@object ; @__hip_cuid_c7c0b30637fae44a
	.section	.bss,"aw",@nobits
	.globl	__hip_cuid_c7c0b30637fae44a
__hip_cuid_c7c0b30637fae44a:
	.byte	0                               ; 0x0
	.size	__hip_cuid_c7c0b30637fae44a, 1

	.ident	"AMD clang version 19.0.0git (https://github.com/RadeonOpenCompute/llvm-project roc-6.4.0 25133 c7fe45cf4b819c5991fe208aaa96edf142730f1d)"
	.section	".note.GNU-stack","",@progbits
	.addrsig
	.addrsig_sym __hip_cuid_c7c0b30637fae44a
	.amdgpu_metadata
---
amdhsa.kernels:
  - .agpr_count:     0
    .args:
      - .actual_access:  read_only
        .address_space:  global
        .offset:         0
        .size:           8
        .value_kind:     global_buffer
      - .actual_access:  read_only
        .address_space:  global
        .offset:         8
        .size:           8
        .value_kind:     global_buffer
      - .actual_access:  read_only
        .address_space:  global
        .offset:         16
        .size:           8
        .value_kind:     global_buffer
      - .actual_access:  read_only
        .address_space:  global
        .offset:         24
        .size:           8
        .value_kind:     global_buffer
      - .actual_access:  read_only
        .address_space:  global
        .offset:         32
        .size:           8
        .value_kind:     global_buffer
      - .offset:         40
        .size:           8
        .value_kind:     by_value
      - .address_space:  global
        .offset:         48
        .size:           8
        .value_kind:     global_buffer
      - .address_space:  global
        .offset:         56
        .size:           8
        .value_kind:     global_buffer
      - .address_space:  global
        .offset:         64
        .size:           8
        .value_kind:     global_buffer
      - .address_space:  global
        .offset:         72
        .size:           8
        .value_kind:     global_buffer
      - .offset:         80
        .size:           4
        .value_kind:     by_value
      - .address_space:  global
        .offset:         88
        .size:           8
        .value_kind:     global_buffer
      - .address_space:  global
        .offset:         96
        .size:           8
        .value_kind:     global_buffer
    .group_segment_fixed_size: 16016
    .kernarg_segment_align: 8
    .kernarg_segment_size: 104
    .language:       OpenCL C
    .language_version:
      - 2
      - 0
    .max_flat_workgroup_size: 182
    .name:           bluestein_single_fwd_len143_dim1_sp_op_CI_CI
    .private_segment_fixed_size: 0
    .sgpr_count:     48
    .sgpr_spill_count: 0
    .symbol:         bluestein_single_fwd_len143_dim1_sp_op_CI_CI.kd
    .uniform_work_group_size: 1
    .uses_dynamic_stack: false
    .vgpr_count:     196
    .vgpr_spill_count: 0
    .wavefront_size: 64
amdhsa.target:   amdgcn-amd-amdhsa--gfx950
amdhsa.version:
  - 1
  - 2
...

	.end_amdgpu_metadata
